;; amdgpu-corpus repo=ROCm/rocFFT kind=compiled arch=gfx1030 opt=O3
	.text
	.amdgcn_target "amdgcn-amd-amdhsa--gfx1030"
	.amdhsa_code_object_version 6
	.protected	bluestein_single_fwd_len704_dim1_dp_op_CI_CI ; -- Begin function bluestein_single_fwd_len704_dim1_dp_op_CI_CI
	.globl	bluestein_single_fwd_len704_dim1_dp_op_CI_CI
	.p2align	8
	.type	bluestein_single_fwd_len704_dim1_dp_op_CI_CI,@function
bluestein_single_fwd_len704_dim1_dp_op_CI_CI: ; @bluestein_single_fwd_len704_dim1_dp_op_CI_CI
; %bb.0:
	s_load_dwordx4 s[12:15], s[4:5], 0x28
	v_mul_u32_u24_e32 v1, 0x2e9, v0
	s_mov_b64 s[42:43], s[2:3]
	s_mov_b64 s[40:41], s[0:1]
	v_mov_b32_e32 v248, 0
	s_add_u32 s40, s40, s7
	v_lshrrev_b32_e32 v32, 16, v1
	s_addc_u32 s41, s41, 0
	s_mov_b32 s0, exec_lo
	v_lshl_add_u32 v247, s6, 1, v32
	s_waitcnt lgkmcnt(0)
	v_cmpx_gt_u64_e64 s[12:13], v[247:248]
	s_cbranch_execz .LBB0_10
; %bb.1:
	s_clause 0x1
	s_load_dwordx4 s[8:11], s[4:5], 0x18
	s_load_dwordx4 s[0:3], s[4:5], 0x0
	v_mul_lo_u16 v1, 0x58, v32
	s_load_dwordx2 s[4:5], s[4:5], 0x38
                                        ; implicit-def: $vgpr100_vgpr101
                                        ; implicit-def: $vgpr104_vgpr105
                                        ; implicit-def: $vgpr108_vgpr109
	v_sub_nc_u16 v36, v0, v1
	v_and_b32_e32 v241, 0xffff, v36
	v_lshlrev_b32_e32 v140, 4, v241
	s_waitcnt lgkmcnt(0)
	s_load_dwordx4 s[16:19], s[8:9], 0x0
	s_clause 0x1
	global_load_dwordx4 v[251:254], v140, s[0:1]
	global_load_dwordx4 v[2:5], v140, s[0:1] offset:1408
	v_add_co_u32 v245, s6, s0, v140
	v_add_co_ci_u32_e64 v246, null, s1, 0, s6
	v_add_co_u32 v24, vcc_lo, 0x1000, v245
	v_add_co_ci_u32_e32 v25, vcc_lo, 0, v246, vcc_lo
	v_add_co_u32 v8, vcc_lo, 0x1800, v245
	v_add_co_ci_u32_e32 v9, vcc_lo, 0, v246, vcc_lo
	;; [unrolled: 2-line block ×3, first 2 shown]
	s_waitcnt lgkmcnt(0)
	v_mad_u64_u32 v[16:17], null, s18, v247, 0
	v_mad_u64_u32 v[18:19], null, s16, v241, 0
	v_add_co_u32 v28, vcc_lo, 0x2000, v245
	v_add_co_ci_u32_e32 v29, vcc_lo, 0, v246, vcc_lo
	v_mov_b32_e32 v10, v17
	s_mul_i32 s0, s17, 0x1600
	v_mov_b32_e32 v11, v19
	s_mul_hi_u32 s1, s16, 0x1600
	s_mul_i32 s6, s16, 0x1600
	s_add_i32 s1, s1, s0
	s_mul_hi_u32 s8, s16, 0xffffef80
	v_mad_u64_u32 v[22:23], null, s19, v247, v[10:11]
	v_mad_u64_u32 v[26:27], null, s17, v241, v[11:12]
	s_mul_i32 s7, s17, 0xffffef80
	s_mul_i32 s9, s16, 0xffffef80
	s_sub_i32 s0, s8, s16
	s_clause 0x1
	global_load_dwordx4 v[10:13], v[24:25], off offset:1536
	global_load_dwordx4 v[6:9], v[8:9], off offset:896
	v_mov_b32_e32 v17, v22
	s_add_i32 s0, s0, s7
	v_mov_b32_e32 v19, v26
	v_lshlrev_b64 v[16:17], 4, v[16:17]
	v_lshlrev_b64 v[18:19], 4, v[18:19]
	v_add_co_u32 v0, vcc_lo, s14, v16
	v_add_co_ci_u32_e32 v1, vcc_lo, s15, v17, vcc_lo
	global_load_dwordx4 v[14:17], v[20:21], off offset:768
	v_add_co_u32 v26, vcc_lo, v0, v18
	v_add_co_ci_u32_e32 v27, vcc_lo, v1, v19, vcc_lo
	global_load_dwordx4 v[18:21], v[28:29], off offset:256
	v_add_co_u32 v30, vcc_lo, v26, s6
	v_add_co_ci_u32_e32 v31, vcc_lo, s1, v27, vcc_lo
	s_clause 0x1
	global_load_dwordx4 v[37:40], v[26:27], off
	global_load_dwordx4 v[41:44], v[30:31], off
	v_add_co_u32 v33, vcc_lo, v30, s9
	v_add_co_ci_u32_e32 v34, vcc_lo, s0, v31, vcc_lo
	v_and_b32_e32 v0, 1, v32
	v_add_co_u32 v49, vcc_lo, v33, s6
	v_add_co_ci_u32_e32 v50, vcc_lo, s1, v34, vcc_lo
	v_add_co_u32 v53, vcc_lo, v49, s9
	v_add_co_ci_u32_e32 v54, vcc_lo, s0, v50, vcc_lo
	s_clause 0x1
	global_load_dwordx4 v[45:48], v[33:34], off
	global_load_dwordx4 v[49:52], v[49:50], off
	v_add_co_u32 v26, vcc_lo, v53, s6
	v_add_co_ci_u32_e32 v27, vcc_lo, s1, v54, vcc_lo
	global_load_dwordx4 v[53:56], v[53:54], off
	v_add_co_u32 v30, vcc_lo, v26, s9
	v_add_co_ci_u32_e32 v31, vcc_lo, s0, v27, vcc_lo
	v_add_co_u32 v33, vcc_lo, v30, s6
	v_add_co_ci_u32_e32 v34, vcc_lo, s1, v31, vcc_lo
	global_load_dwordx4 v[57:60], v[26:27], off
	global_load_dwordx4 v[22:25], v[24:25], off offset:128
	global_load_dwordx4 v[61:64], v[30:31], off
	global_load_dwordx4 v[26:29], v[28:29], off offset:1664
	global_load_dwordx4 v[65:68], v[33:34], off
	v_cmp_eq_u32_e32 vcc_lo, 1, v0
	v_and_b32_e32 v0, 1, v241
	v_cndmask_b32_e64 v255, 0, 0x2c0, vcc_lo
	v_lshlrev_b32_e32 v1, 4, v0
	v_cmp_gt_u16_e32 vcc_lo, 64, v36
	v_lshlrev_b32_e32 v243, 4, v255
	v_add_nc_u32_e32 v242, v243, v140
	s_waitcnt vmcnt(9)
	v_mul_f64 v[32:33], v[39:40], v[253:254]
	s_waitcnt vmcnt(8)
	v_mul_f64 v[69:70], v[43:44], v[12:13]
	v_mul_f64 v[34:35], v[37:38], v[253:254]
	;; [unrolled: 1-line block ×3, first 2 shown]
	s_waitcnt vmcnt(7)
	v_mul_f64 v[73:74], v[47:48], v[4:5]
	s_waitcnt vmcnt(6)
	v_mul_f64 v[77:78], v[51:52], v[8:9]
	v_mul_f64 v[75:76], v[45:46], v[4:5]
	;; [unrolled: 1-line block ×3, first 2 shown]
	s_waitcnt vmcnt(5)
	v_mul_f64 v[81:82], v[55:56], v[16:17]
	v_fma_f64 v[32:33], v[37:38], v[251:252], v[32:33]
	v_fma_f64 v[37:38], v[41:42], v[10:11], v[69:70]
	buffer_store_dword v10, off, s[40:43], 0 offset:32 ; 4-byte Folded Spill
	buffer_store_dword v11, off, s[40:43], 0 offset:36 ; 4-byte Folded Spill
	;; [unrolled: 1-line block ×4, first 2 shown]
	v_mul_f64 v[83:84], v[53:54], v[16:17]
	v_fma_f64 v[34:35], v[39:40], v[251:252], -v[34:35]
	s_waitcnt vmcnt(4)
	v_mul_f64 v[85:86], v[59:60], v[20:21]
	v_mul_f64 v[87:88], v[57:58], v[20:21]
	s_waitcnt vmcnt(2)
	v_mul_f64 v[89:90], v[63:64], v[24:25]
	v_mul_f64 v[91:92], v[61:62], v[24:25]
	s_waitcnt vmcnt(0)
	v_mul_f64 v[93:94], v[67:68], v[28:29]
	v_mul_f64 v[95:96], v[65:66], v[28:29]
	v_fma_f64 v[41:42], v[45:46], v[2:3], v[73:74]
	buffer_store_dword v2, off, s[40:43], 0 ; 4-byte Folded Spill
	buffer_store_dword v3, off, s[40:43], 0 offset:4 ; 4-byte Folded Spill
	buffer_store_dword v4, off, s[40:43], 0 offset:8 ; 4-byte Folded Spill
	buffer_store_dword v5, off, s[40:43], 0 offset:12 ; 4-byte Folded Spill
	v_fma_f64 v[45:46], v[49:50], v[6:7], v[77:78]
	buffer_store_dword v6, off, s[40:43], 0 offset:16 ; 4-byte Folded Spill
	buffer_store_dword v7, off, s[40:43], 0 offset:20 ; 4-byte Folded Spill
	buffer_store_dword v8, off, s[40:43], 0 offset:24 ; 4-byte Folded Spill
	buffer_store_dword v9, off, s[40:43], 0 offset:28 ; 4-byte Folded Spill
	v_fma_f64 v[49:50], v[53:54], v[14:15], v[81:82]
	buffer_store_dword v14, off, s[40:43], 0 offset:48 ; 4-byte Folded Spill
	;; [unrolled: 5-line block ×5, first 2 shown]
	buffer_store_dword v27, off, s[40:43], 0 offset:100 ; 4-byte Folded Spill
	buffer_store_dword v28, off, s[40:43], 0 offset:104 ; 4-byte Folded Spill
	;; [unrolled: 1-line block ×3, first 2 shown]
	s_load_dwordx4 s[8:11], s[10:11], 0x0
	v_fma_f64 v[39:40], v[43:44], v[10:11], -v[71:72]
	v_fma_f64 v[43:44], v[47:48], v[2:3], -v[75:76]
	;; [unrolled: 1-line block ×5, first 2 shown]
	v_lshl_add_u32 v18, v241, 5, v243
	v_fma_f64 v[59:60], v[63:64], v[22:23], -v[91:92]
	v_fma_f64 v[63:64], v[67:68], v[26:27], -v[95:96]
	ds_write_b128 v242, v[32:35]
	ds_write_b128 v242, v[37:40] offset:5632
	ds_write_b128 v242, v[41:44] offset:1408
	;; [unrolled: 1-line block ×7, first 2 shown]
	s_waitcnt lgkmcnt(0)
	s_waitcnt_vscnt null, 0x0
	s_barrier
	buffer_gl0_inv
	ds_read_b128 v[32:35], v242 offset:5632
	ds_read_b128 v[38:41], v242
	ds_read_b128 v[42:45], v242 offset:1408
	ds_read_b128 v[46:49], v242 offset:7040
	ds_read_b128 v[50:53], v242 offset:8448
	ds_read_b128 v[54:57], v242 offset:2816
	ds_read_b128 v[58:61], v242 offset:4224
	ds_read_b128 v[62:65], v242 offset:9856
	v_lshlrev_b32_e32 v37, 1, v241
	s_waitcnt lgkmcnt(0)
	s_barrier
	buffer_gl0_inv
	v_and_or_b32 v2, 0xfc, v37, v0
	v_lshl_add_u32 v28, v2, 4, v243
	v_add_f64 v[32:33], v[38:39], -v[32:33]
	v_add_f64 v[34:35], v[40:41], -v[34:35]
	;; [unrolled: 1-line block ×8, first 2 shown]
	v_add_nc_u32_e32 v48, 0xb0, v37
	v_lshl_add_u32 v21, v48, 4, v243
	v_and_or_b32 v3, 0x1fc, v48, v0
	v_lshl_add_u32 v22, v3, 4, v243
	v_fma_f64 v[70:71], v[38:39], 2.0, -v[32:33]
	v_fma_f64 v[72:73], v[40:41], 2.0, -v[34:35]
	v_fma_f64 v[40:41], v[42:43], 2.0, -v[66:67]
	v_fma_f64 v[42:43], v[44:45], 2.0, -v[68:69]
	v_fma_f64 v[44:45], v[54:55], 2.0, -v[49:50]
	v_fma_f64 v[46:47], v[56:57], 2.0, -v[51:52]
	v_fma_f64 v[53:54], v[58:59], 2.0, -v[62:63]
	v_fma_f64 v[55:56], v[60:61], 2.0, -v[64:65]
	v_add_nc_u32_e32 v39, 0x160, v37
	v_add_nc_u32_e32 v38, 0x210, v37
	v_lshl_add_u32 v20, v39, 4, v243
	v_lshl_add_u32 v19, v38, 4, v243
	ds_write_b128 v18, v[32:35] offset:16
	ds_write_b128 v18, v[70:73]
	ds_write_b128 v21, v[40:43]
	ds_write_b128 v21, v[66:69] offset:16
	ds_write_b128 v20, v[44:47]
	ds_write_b128 v20, v[49:52] offset:16
	;; [unrolled: 2-line block ×3, first 2 shown]
	s_waitcnt lgkmcnt(0)
	s_barrier
	buffer_gl0_inv
	global_load_dwordx4 v[32:35], v1, s[2:3]
	ds_read_b128 v[40:43], v242 offset:5632
	ds_read_b128 v[44:47], v242 offset:7040
	;; [unrolled: 1-line block ×4, first 2 shown]
	ds_read_b128 v[57:60], v242
	ds_read_b128 v[61:64], v242 offset:1408
	v_and_b32_e32 v1, 3, v241
	v_and_or_b32 v4, 0x3fc, v39, v0
	v_and_or_b32 v0, 0x3fc, v38, v0
	v_lshlrev_b32_e32 v5, 4, v1
	v_lshl_add_u32 v24, v4, 4, v243
	v_lshl_add_u32 v23, v0, 4, v243
	v_and_b32_e32 v0, 7, v241
	v_and_or_b32 v2, 0xf8, v37, v1
	v_and_or_b32 v3, 0x1f8, v48, v1
	;; [unrolled: 1-line block ×4, first 2 shown]
	v_lshl_add_u32 v248, v2, 4, v243
	v_lshl_add_u32 v244, v3, 4, v243
	;; [unrolled: 1-line block ×4, first 2 shown]
	v_and_or_b32 v1, 0xf0, v37, v0
	v_and_or_b32 v2, 0x1f0, v48, v0
	v_and_or_b32 v3, 0x3f0, v39, v0
	v_lshl_add_u32 v26, v1, 4, v243
	v_lshl_add_u32 v29, v2, 4, v243
	;; [unrolled: 1-line block ×3, first 2 shown]
	s_waitcnt vmcnt(0) lgkmcnt(5)
	v_mul_f64 v[65:66], v[42:43], v[34:35]
	v_mul_f64 v[67:68], v[40:41], v[34:35]
	s_waitcnt lgkmcnt(4)
	v_mul_f64 v[69:70], v[46:47], v[34:35]
	v_mul_f64 v[71:72], v[44:45], v[34:35]
	s_waitcnt lgkmcnt(3)
	;; [unrolled: 3-line block ×3, first 2 shown]
	v_mul_f64 v[77:78], v[55:56], v[34:35]
	v_mul_f64 v[79:80], v[53:54], v[34:35]
	v_fma_f64 v[65:66], v[40:41], v[32:33], -v[65:66]
	v_fma_f64 v[67:68], v[42:43], v[32:33], v[67:68]
	v_fma_f64 v[69:70], v[44:45], v[32:33], -v[69:70]
	v_fma_f64 v[71:72], v[46:47], v[32:33], v[71:72]
	;; [unrolled: 2-line block ×3, first 2 shown]
	v_fma_f64 v[77:78], v[53:54], v[32:33], -v[77:78]
	ds_read_b128 v[40:43], v242 offset:2816
	ds_read_b128 v[44:47], v242 offset:4224
	v_fma_f64 v[79:80], v[55:56], v[32:33], v[79:80]
	s_waitcnt lgkmcnt(0)
	s_barrier
	buffer_gl0_inv
	v_add_f64 v[49:50], v[57:58], -v[65:66]
	v_add_f64 v[51:52], v[59:60], -v[67:68]
	v_add_f64 v[53:54], v[61:62], -v[69:70]
	v_add_f64 v[55:56], v[63:64], -v[71:72]
	v_add_f64 v[65:66], v[40:41], -v[73:74]
	v_add_f64 v[67:68], v[42:43], -v[75:76]
	v_add_f64 v[69:70], v[44:45], -v[77:78]
	v_add_f64 v[71:72], v[46:47], -v[79:80]
	v_fma_f64 v[57:58], v[57:58], 2.0, -v[49:50]
	v_fma_f64 v[59:60], v[59:60], 2.0, -v[51:52]
	;; [unrolled: 1-line block ×8, first 2 shown]
	ds_write_b128 v28, v[49:52] offset:32
	ds_write_b128 v28, v[57:60]
	ds_write_b128 v22, v[61:64]
	ds_write_b128 v22, v[53:56] offset:32
	ds_write_b128 v24, v[40:43]
	ds_write_b128 v24, v[65:68] offset:32
	;; [unrolled: 2-line block ×3, first 2 shown]
	s_waitcnt lgkmcnt(0)
	s_barrier
	buffer_gl0_inv
	global_load_dwordx4 v[40:43], v5, s[2:3] offset:32
	ds_read_b128 v[44:47], v242 offset:5632
	ds_read_b128 v[49:52], v242 offset:7040
	;; [unrolled: 1-line block ×4, first 2 shown]
	ds_read_b128 v[61:64], v242
	ds_read_b128 v[65:68], v242 offset:1408
	v_lshlrev_b32_e32 v5, 4, v0
	v_and_or_b32 v0, 0x3f0, v38, v0
	v_lshl_add_u32 v25, v0, 4, v243
	s_waitcnt vmcnt(0) lgkmcnt(5)
	v_mul_f64 v[69:70], v[46:47], v[42:43]
	v_mul_f64 v[71:72], v[44:45], v[42:43]
	s_waitcnt lgkmcnt(4)
	v_mul_f64 v[73:74], v[51:52], v[42:43]
	v_mul_f64 v[75:76], v[49:50], v[42:43]
	s_waitcnt lgkmcnt(3)
	;; [unrolled: 3-line block ×3, first 2 shown]
	v_mul_f64 v[81:82], v[59:60], v[42:43]
	v_mul_f64 v[83:84], v[57:58], v[42:43]
	v_fma_f64 v[69:70], v[44:45], v[40:41], -v[69:70]
	v_fma_f64 v[71:72], v[46:47], v[40:41], v[71:72]
	v_fma_f64 v[73:74], v[49:50], v[40:41], -v[73:74]
	v_fma_f64 v[75:76], v[51:52], v[40:41], v[75:76]
	;; [unrolled: 2-line block ×3, first 2 shown]
	v_fma_f64 v[81:82], v[57:58], v[40:41], -v[81:82]
	ds_read_b128 v[44:47], v242 offset:2816
	ds_read_b128 v[49:52], v242 offset:4224
	v_fma_f64 v[83:84], v[59:60], v[40:41], v[83:84]
	s_waitcnt lgkmcnt(0)
	s_barrier
	buffer_gl0_inv
	v_add_f64 v[53:54], v[61:62], -v[69:70]
	v_add_f64 v[55:56], v[63:64], -v[71:72]
	;; [unrolled: 1-line block ×8, first 2 shown]
	v_fma_f64 v[61:62], v[61:62], 2.0, -v[53:54]
	v_fma_f64 v[63:64], v[63:64], 2.0, -v[55:56]
	;; [unrolled: 1-line block ×8, first 2 shown]
	ds_write_b128 v248, v[53:56] offset:64
	ds_write_b128 v248, v[61:64]
	ds_write_b128 v244, v[65:68]
	ds_write_b128 v244, v[57:60] offset:64
	ds_write_b128 v31, v[44:47]
	ds_write_b128 v31, v[69:72] offset:64
	;; [unrolled: 2-line block ×3, first 2 shown]
	s_waitcnt lgkmcnt(0)
	s_barrier
	buffer_gl0_inv
	global_load_dwordx4 v[44:47], v5, s[2:3] offset:96
	ds_read_b128 v[49:52], v242 offset:5632
	ds_read_b128 v[53:56], v242 offset:7040
	;; [unrolled: 1-line block ×4, first 2 shown]
	ds_read_b128 v[76:79], v242
	ds_read_b128 v[92:95], v242 offset:1408
	s_waitcnt vmcnt(0) lgkmcnt(5)
	v_mul_f64 v[65:66], v[51:52], v[46:47]
	v_mul_f64 v[67:68], v[49:50], v[46:47]
	s_waitcnt lgkmcnt(4)
	v_mul_f64 v[69:70], v[55:56], v[46:47]
	v_mul_f64 v[71:72], v[53:54], v[46:47]
	s_waitcnt lgkmcnt(3)
	;; [unrolled: 3-line block ×3, first 2 shown]
	v_mul_f64 v[82:83], v[63:64], v[46:47]
	v_mul_f64 v[84:85], v[61:62], v[46:47]
	v_fma_f64 v[65:66], v[49:50], v[44:45], -v[65:66]
	v_fma_f64 v[86:87], v[51:52], v[44:45], v[67:68]
	v_fma_f64 v[88:89], v[53:54], v[44:45], -v[69:70]
	v_fma_f64 v[90:91], v[55:56], v[44:45], v[71:72]
	;; [unrolled: 2-line block ×4, first 2 shown]
	ds_read_b128 v[49:52], v242 offset:2816
	ds_read_b128 v[53:56], v242 offset:4224
	s_waitcnt lgkmcnt(0)
	s_barrier
	buffer_gl0_inv
	v_add_f64 v[68:69], v[76:77], -v[65:66]
	v_add_f64 v[70:71], v[78:79], -v[86:87]
	;; [unrolled: 1-line block ×8, first 2 shown]
	v_fma_f64 v[88:89], v[76:77], 2.0, -v[68:69]
	v_fma_f64 v[90:91], v[78:79], 2.0, -v[70:71]
	;; [unrolled: 1-line block ×8, first 2 shown]
	ds_write_b128 v26, v[68:71] offset:128
	ds_write_b128 v26, v[88:91]
	ds_write_b128 v29, v[76:79]
	ds_write_b128 v29, v[72:75] offset:128
	ds_write_b128 v27, v[96:99]
	ds_write_b128 v27, v[80:83] offset:128
	;; [unrolled: 2-line block ×3, first 2 shown]
	s_waitcnt lgkmcnt(0)
	s_barrier
	buffer_gl0_inv
	s_and_saveexec_b32 s0, vcc_lo
	s_cbranch_execz .LBB0_3
; %bb.2:
	v_or_b32_e32 v0, v255, v241
	v_lshlrev_b32_e32 v0, 4, v0
	ds_read_b128 v[88:91], v0
	ds_read_b128 v[68:71], v0 offset:1024
	ds_read_b128 v[76:79], v0 offset:2048
	;; [unrolled: 1-line block ×10, first 2 shown]
.LBB0_3:
	s_or_b32 exec_lo, exec_lo, s0
	v_and_b32_e32 v16, 15, v241
	s_mov_b32 s18, 0xf8bb580b
	s_mov_b32 s19, 0xbfe14ced
	;; [unrolled: 1-line block ×4, first 2 shown]
	v_mad_u64_u32 v[124:125], null, 0xa0, v16, s[2:3]
	s_mov_b32 s1, 0x3feaeb8c
	s_mov_b32 s13, 0xbfed1bb4
	;; [unrolled: 1-line block ×6, first 2 shown]
	s_clause 0x5
	global_load_dwordx4 v[36:39], v[124:125], off offset:224
	global_load_dwordx4 v[56:59], v[124:125], off offset:368
	;; [unrolled: 1-line block ×6, first 2 shown]
	s_mov_b32 s14, 0x640f44db
	s_mov_b32 s15, 0xbfc2375f
	;; [unrolled: 1-line block ×18, first 2 shown]
	v_lshrrev_b32_e32 v17, 4, v241
	s_waitcnt vmcnt(5) lgkmcnt(9)
	v_mul_f64 v[112:113], v[68:69], v[38:39]
	v_mul_f64 v[114:115], v[70:71], v[38:39]
	v_fma_f64 v[187:188], v[70:71], v[36:37], v[112:113]
	v_fma_f64 v[185:186], v[68:69], v[36:37], -v[114:115]
	s_waitcnt vmcnt(4) lgkmcnt(0)
	v_mul_f64 v[68:69], v[108:109], v[58:59]
	v_mul_f64 v[70:71], v[110:111], v[58:59]
	v_fma_f64 v[110:111], v[110:111], v[56:57], v[68:69]
	v_fma_f64 v[108:109], v[108:109], v[56:57], -v[70:71]
	s_waitcnt vmcnt(3)
	v_mul_f64 v[68:69], v[78:79], v[50:51]
	v_mul_f64 v[70:71], v[76:77], v[50:51]
	v_add_f64 v[223:224], v[187:188], -v[110:111]
	v_add_f64 v[221:222], v[185:186], v[108:109]
	v_fma_f64 v[128:129], v[76:77], v[48:49], -v[68:69]
	v_fma_f64 v[130:131], v[78:79], v[48:49], v[70:71]
	s_waitcnt vmcnt(2)
	v_mul_f64 v[68:69], v[104:105], v[54:55]
	v_mul_f64 v[70:71], v[106:107], v[54:55]
	v_add_f64 v[231:232], v[185:186], -v[108:109]
	v_add_f64 v[229:230], v[187:188], v[110:111]
	v_mul_f64 v[225:226], v[223:224], s[18:19]
	v_mul_f64 v[233:234], v[223:224], s[12:13]
	;; [unrolled: 1-line block ×3, first 2 shown]
	v_fma_f64 v[106:107], v[106:107], v[52:53], v[68:69]
	v_fma_f64 v[104:105], v[104:105], v[52:53], -v[70:71]
	s_waitcnt vmcnt(1)
	v_mul_f64 v[68:69], v[72:73], v[62:63]
	v_mul_f64 v[70:71], v[74:75], v[62:63]
	v_mul_f64 v[227:228], v[231:232], s[18:19]
	v_mul_f64 v[235:236], v[231:232], s[12:13]
	v_mul_f64 v[239:240], v[231:232], s[16:17]
	v_add_f64 v[157:158], v[130:131], -v[106:107]
	v_add_f64 v[153:154], v[128:129], v[104:105]
	v_fma_f64 v[118:119], v[74:75], v[60:61], v[68:69]
	v_fma_f64 v[116:117], v[72:73], v[60:61], -v[70:71]
	s_waitcnt vmcnt(0)
	v_mul_f64 v[68:69], v[98:99], v[66:67]
	v_mul_f64 v[70:71], v[96:97], v[66:67]
	v_add_f64 v[167:168], v[128:129], -v[104:105]
	v_add_f64 v[165:166], v[130:131], v[106:107]
	v_mul_f64 v[175:176], v[157:158], s[12:13]
	v_mul_f64 v[203:204], v[157:158], s[28:29]
	;; [unrolled: 1-line block ×3, first 2 shown]
	v_fma_f64 v[112:113], v[96:97], v[64:65], -v[68:69]
	v_fma_f64 v[114:115], v[98:99], v[64:65], v[70:71]
	s_clause 0x1
	global_load_dwordx4 v[68:71], v[124:125], off offset:288
	global_load_dwordx4 v[76:79], v[124:125], off offset:304
	v_mul_f64 v[179:180], v[167:168], s[12:13]
	v_mul_f64 v[209:210], v[167:168], s[28:29]
	;; [unrolled: 1-line block ×3, first 2 shown]
	v_fma_f64 v[98:99], v[153:154], s[20:21], v[203:204]
	v_fma_f64 v[191:192], v[165:166], s[22:23], -v[219:220]
	s_waitcnt vmcnt(1)
	v_mul_f64 v[72:73], v[82:83], v[70:71]
	v_fma_f64 v[120:121], v[80:81], v[68:69], -v[72:73]
	v_mul_f64 v[72:73], v[80:81], v[70:71]
	v_fma_f64 v[122:123], v[82:83], v[68:69], v[72:73]
	s_clause 0x1
	global_load_dwordx4 v[72:75], v[124:125], off offset:336
	global_load_dwordx4 v[80:83], v[124:125], off offset:320
	s_waitcnt vmcnt(0)
	s_barrier
	buffer_gl0_inv
	v_mul_f64 v[96:97], v[100:101], v[74:75]
	v_fma_f64 v[124:125], v[102:103], v[72:73], v[96:97]
	v_mul_f64 v[96:97], v[102:103], v[74:75]
	v_fma_f64 v[102:103], v[153:154], s[22:23], v[217:218]
	v_add_f64 v[138:139], v[118:119], -v[124:125]
	v_fma_f64 v[126:127], v[100:101], v[72:73], -v[96:97]
	v_mul_f64 v[96:97], v[94:95], v[78:79]
	v_add_f64 v[145:146], v[118:119], v[124:125]
	v_fma_f64 v[100:101], v[165:166], s[20:21], -v[209:210]
	v_mul_f64 v[183:184], v[138:139], s[16:17]
	v_add_f64 v[136:137], v[116:117], v[126:127]
	v_fma_f64 v[132:133], v[92:93], v[76:77], -v[96:97]
	v_mul_f64 v[92:93], v[92:93], v[78:79]
	v_fma_f64 v[96:97], v[165:166], s[6:7], -v[179:180]
	v_add_f64 v[163:164], v[116:117], -v[126:127]
	v_mul_f64 v[181:182], v[138:139], s[24:25]
	v_mul_f64 v[207:208], v[138:139], s[30:31]
	v_add_f64 v[147:148], v[120:121], v[132:133]
	v_fma_f64 v[134:135], v[94:95], v[76:77], v[92:93]
	v_mul_f64 v[92:93], v[86:87], v[82:83]
	v_mul_f64 v[193:194], v[163:164], s[16:17]
	v_add_f64 v[161:162], v[120:121], -v[132:133]
	v_mul_f64 v[189:190], v[163:164], s[24:25]
	v_mul_f64 v[215:216], v[163:164], s[30:31]
	v_add_f64 v[149:150], v[122:123], -v[134:135]
	v_fma_f64 v[92:93], v[84:85], v[80:81], -v[92:93]
	v_mul_f64 v[84:85], v[84:85], v[82:83]
	v_add_f64 v[159:160], v[122:123], v[134:135]
	v_mul_f64 v[213:214], v[161:162], s[26:27]
	v_mul_f64 v[171:172], v[161:162], s[34:35]
	;; [unrolled: 1-line block ×3, first 2 shown]
	v_add_f64 v[141:142], v[112:113], v[92:93]
	v_fma_f64 v[94:95], v[86:87], v[80:81], v[84:85]
	v_fma_f64 v[84:85], v[221:222], s[0:1], v[225:226]
	;; [unrolled: 1-line block ×3, first 2 shown]
	v_add_f64 v[155:156], v[112:113], -v[92:93]
	v_mul_f64 v[169:170], v[149:150], s[34:35]
	v_add_f64 v[143:144], v[114:115], -v[94:95]
	v_add_f64 v[84:85], v[88:89], v[84:85]
	v_add_f64 v[151:152], v[114:115], v[94:95]
	v_mul_f64 v[205:206], v[155:156], s[28:29]
	v_mul_f64 v[177:178], v[155:156], s[36:37]
	;; [unrolled: 1-line block ×4, first 2 shown]
	v_add_f64 v[84:85], v[86:87], v[84:85]
	v_fma_f64 v[86:87], v[229:230], s[0:1], -v[227:228]
	v_mul_f64 v[173:174], v[143:144], s[36:37]
	v_mul_f64 v[197:198], v[143:144], s[18:19]
	v_add_f64 v[86:87], v[90:91], v[86:87]
	v_add_f64 v[86:87], v[96:97], v[86:87]
	v_fma_f64 v[96:97], v[136:137], s[14:15], v[183:184]
	v_add_f64 v[84:85], v[96:97], v[84:85]
	v_fma_f64 v[96:97], v[145:146], s[14:15], -v[193:194]
	v_add_f64 v[86:87], v[96:97], v[86:87]
	v_fma_f64 v[96:97], v[141:142], s[20:21], v[199:200]
	v_add_f64 v[84:85], v[96:97], v[84:85]
	v_fma_f64 v[96:97], v[151:152], s[20:21], -v[205:206]
	;; [unrolled: 4-line block ×3, first 2 shown]
	v_add_f64 v[86:87], v[96:97], v[86:87]
	v_fma_f64 v[96:97], v[221:222], s[6:7], v[233:234]
	v_add_f64 v[96:97], v[88:89], v[96:97]
	v_add_f64 v[96:97], v[98:99], v[96:97]
	v_fma_f64 v[98:99], v[229:230], s[6:7], -v[235:236]
	v_add_f64 v[98:99], v[90:91], v[98:99]
	v_add_f64 v[98:99], v[100:101], v[98:99]
	v_fma_f64 v[100:101], v[136:137], s[22:23], v[181:182]
	v_add_f64 v[96:97], v[100:101], v[96:97]
	v_fma_f64 v[100:101], v[145:146], s[22:23], -v[189:190]
	v_add_f64 v[98:99], v[100:101], v[98:99]
	v_fma_f64 v[100:101], v[141:142], s[14:15], v[173:174]
	v_add_f64 v[96:97], v[100:101], v[96:97]
	v_fma_f64 v[100:101], v[151:152], s[14:15], -v[177:178]
	;; [unrolled: 4-line block ×3, first 2 shown]
	v_add_f64 v[98:99], v[100:101], v[98:99]
	v_fma_f64 v[100:101], v[221:222], s[14:15], v[237:238]
	v_add_f64 v[100:101], v[88:89], v[100:101]
	v_add_f64 v[100:101], v[102:103], v[100:101]
	v_fma_f64 v[102:103], v[229:230], s[14:15], -v[239:240]
	v_add_f64 v[102:103], v[90:91], v[102:103]
	v_add_f64 v[102:103], v[191:192], v[102:103]
	v_fma_f64 v[191:192], v[136:137], s[6:7], v[207:208]
	v_add_f64 v[100:101], v[191:192], v[100:101]
	v_fma_f64 v[191:192], v[145:146], s[6:7], -v[215:216]
	v_add_f64 v[102:103], v[191:192], v[102:103]
	v_fma_f64 v[191:192], v[141:142], s[0:1], v[197:198]
	v_add_f64 v[100:101], v[191:192], v[100:101]
	v_fma_f64 v[191:192], v[151:152], s[0:1], -v[201:202]
	v_add_f64 v[102:103], v[191:192], v[102:103]
	v_mul_f64 v[191:192], v[149:150], s[28:29]
	v_fma_f64 v[195:196], v[147:148], s[20:21], v[191:192]
	v_add_f64 v[100:101], v[195:196], v[100:101]
	v_mul_f64 v[195:196], v[161:162], s[28:29]
	v_fma_f64 v[249:250], v[159:160], s[20:21], -v[195:196]
	v_add_f64 v[102:103], v[249:250], v[102:103]
	s_and_saveexec_b32 s33, vcc_lo
	s_cbranch_execz .LBB0_5
; %bb.4:
	buffer_store_dword v255, off, s[40:43], 0 offset:132 ; 4-byte Folded Spill
	v_mov_b32_e32 v255, v16
	buffer_store_dword v27, off, s[40:43], 0 offset:112 ; 4-byte Folded Spill
	buffer_store_dword v30, off, s[40:43], 0 offset:116 ; 4-byte Folded Spill
	;; [unrolled: 1-line block ×5, first 2 shown]
	v_mov_b32_e32 v140, v17
	v_mov_b32_e32 v30, v18
	;; [unrolled: 1-line block ×4, first 2 shown]
	v_mul_f64 v[249:250], v[229:230], s[22:23]
	v_mov_b32_e32 v17, v252
	v_mov_b32_e32 v18, v253
	;; [unrolled: 1-line block ×3, first 2 shown]
	v_mul_f64 v[253:254], v[229:230], s[20:21]
	s_mov_b32 s39, 0x3fe82f19
	s_mov_b32 s38, s28
	v_mov_b32_e32 v241, v244
	v_mov_b32_e32 v244, v21
	;; [unrolled: 1-line block ×6, first 2 shown]
	v_add_f64 v[185:186], v[88:89], v[185:186]
	v_add_f64 v[187:188], v[90:91], v[187:188]
	v_mul_f64 v[8:9], v[143:144], s[30:31]
	v_mul_f64 v[6:7], v[151:152], s[6:7]
	;; [unrolled: 1-line block ×3, first 2 shown]
	v_fma_f64 v[251:252], v[231:232], s[24:25], v[249:250]
	v_fma_f64 v[249:250], v[231:232], s[26:27], v[249:250]
	;; [unrolled: 1-line block ×4, first 2 shown]
	v_mul_f64 v[253:254], v[229:230], s[14:15]
	v_add_f64 v[128:129], v[185:186], v[128:129]
	v_add_f64 v[130:131], v[187:188], v[130:131]
	v_fma_f64 v[10:11], v[141:142], s[6:7], v[8:9]
	v_mul_f64 v[187:188], v[165:166], s[14:15]
	v_fma_f64 v[14:15], v[147:148], s[14:15], v[12:13]
	v_fma_f64 v[8:9], v[141:142], s[6:7], -v[8:9]
	v_fma_f64 v[12:13], v[147:148], s[14:15], -v[12:13]
	v_add_f64 v[249:250], v[90:91], v[249:250]
	v_add_f64 v[247:248], v[90:91], v[247:248]
	;; [unrolled: 1-line block ×4, first 2 shown]
	v_mul_f64 v[253:254], v[229:230], s[6:7]
	v_mul_f64 v[229:230], v[229:230], s[0:1]
	v_add_f64 v[116:117], v[128:129], v[116:117]
	v_add_f64 v[118:119], v[130:131], v[118:119]
	v_mul_f64 v[130:131], v[145:146], s[6:7]
	v_add_f64 v[239:240], v[90:91], v[239:240]
	v_add_f64 v[235:236], v[235:236], v[253:254]
	;; [unrolled: 1-line block ×3, first 2 shown]
	v_mul_f64 v[229:230], v[221:222], s[0:1]
	v_add_f64 v[112:113], v[116:117], v[112:113]
	v_add_f64 v[114:115], v[118:119], v[114:115]
	;; [unrolled: 1-line block ×5, first 2 shown]
	v_add_f64 v[225:226], v[229:230], -v[225:226]
	v_mul_f64 v[229:230], v[221:222], s[6:7]
	v_add_f64 v[112:113], v[112:113], v[120:121]
	v_add_f64 v[114:115], v[114:115], v[122:123]
	v_mul_f64 v[122:123], v[145:146], s[22:23]
	v_mul_f64 v[120:121], v[136:137], s[6:7]
	v_add_f64 v[225:226], v[88:89], v[225:226]
	v_add_f64 v[229:230], v[229:230], -v[233:234]
	v_mul_f64 v[233:234], v[221:222], s[14:15]
	v_add_f64 v[112:113], v[112:113], v[132:133]
	v_add_f64 v[114:115], v[114:115], v[134:135]
	;; [unrolled: 1-line block ×3, first 2 shown]
	v_mul_f64 v[132:133], v[138:139], s[18:19]
	v_add_f64 v[120:121], v[120:121], -v[207:208]
	v_add_f64 v[229:230], v[88:89], v[229:230]
	v_add_f64 v[233:234], v[233:234], -v[237:238]
	v_mul_f64 v[237:238], v[223:224], s[26:27]
	v_mul_f64 v[223:224], v[223:224], s[28:29]
	v_add_f64 v[94:95], v[114:115], v[94:95]
	v_mul_f64 v[114:115], v[151:152], s[22:23]
	v_fma_f64 v[134:135], v[136:137], s[0:1], v[132:133]
	v_fma_f64 v[132:133], v[136:137], s[0:1], -v[132:133]
	v_add_f64 v[92:93], v[112:113], v[92:93]
	v_add_f64 v[233:234], v[88:89], v[233:234]
	v_fma_f64 v[253:254], v[221:222], s[22:23], v[237:238]
	v_fma_f64 v[237:238], v[221:222], s[22:23], -v[237:238]
	v_fma_f64 v[0:1], v[221:222], s[20:21], -v[223:224]
	v_fma_f64 v[2:3], v[221:222], s[20:21], v[223:224]
	v_add_f64 v[221:222], v[90:91], v[251:252]
	v_mul_f64 v[251:252], v[165:166], s[0:1]
	v_add_f64 v[92:93], v[92:93], v[126:127]
	v_add_f64 v[94:95], v[94:95], v[124:125]
	;; [unrolled: 1-line block ×6, first 2 shown]
	v_fma_f64 v[88:89], v[167:168], s[18:19], v[251:252]
	v_fma_f64 v[185:186], v[167:168], s[34:35], v[251:252]
	v_add_f64 v[88:89], v[88:89], v[221:222]
	v_mul_f64 v[221:222], v[157:158], s[34:35]
	v_mul_f64 v[157:158], v[157:158], s[36:37]
	v_add_f64 v[128:129], v[185:186], v[249:250]
	v_fma_f64 v[90:91], v[153:154], s[0:1], v[221:222]
	v_add_f64 v[90:91], v[90:91], v[223:224]
	v_mul_f64 v[223:224], v[145:146], s[20:21]
	v_fma_f64 v[253:254], v[163:164], s[38:39], v[223:224]
	v_add_f64 v[88:89], v[253:254], v[88:89]
	v_mul_f64 v[253:254], v[138:139], s[28:29]
	v_fma_f64 v[4:5], v[136:137], s[20:21], v[253:254]
	v_add_f64 v[4:5], v[4:5], v[90:91]
	v_fma_f64 v[90:91], v[155:156], s[12:13], v[6:7]
	v_fma_f64 v[6:7], v[155:156], s[30:31], v[6:7]
	v_add_f64 v[4:5], v[10:11], v[4:5]
	v_mul_f64 v[10:11], v[159:160], s[14:15]
	v_add_f64 v[88:89], v[90:91], v[88:89]
	v_fma_f64 v[90:91], v[161:162], s[36:37], v[10:11]
	v_fma_f64 v[10:11], v[161:162], s[16:17], v[10:11]
	v_add_f64 v[90:91], v[90:91], v[88:89]
	v_add_f64 v[88:89], v[14:15], v[4:5]
	v_mul_f64 v[4:5], v[165:166], s[6:7]
	v_mul_f64 v[14:15], v[153:154], s[6:7]
	v_add_f64 v[4:5], v[179:180], v[4:5]
	v_mul_f64 v[179:180], v[136:137], s[14:15]
	v_add_f64 v[14:15], v[14:15], -v[175:176]
	v_mul_f64 v[175:176], v[145:146], s[14:15]
	v_add_f64 v[4:5], v[4:5], v[227:228]
	v_add_f64 v[179:180], v[179:180], -v[183:184]
	v_mul_f64 v[183:184], v[151:152], s[20:21]
	v_add_f64 v[175:176], v[193:194], v[175:176]
	v_mul_f64 v[193:194], v[141:142], s[20:21]
	v_add_f64 v[14:15], v[14:15], v[225:226]
	v_add_f64 v[183:184], v[205:206], v[183:184]
	v_mul_f64 v[205:206], v[147:148], s[22:23]
	v_add_f64 v[193:194], v[193:194], -v[199:200]
	v_mul_f64 v[199:200], v[159:160], s[22:23]
	v_add_f64 v[4:5], v[175:176], v[4:5]
	v_add_f64 v[14:15], v[179:180], v[14:15]
	v_add_f64 v[205:206], v[205:206], -v[211:212]
	v_fma_f64 v[211:212], v[167:168], s[16:17], v[187:188]
	v_fma_f64 v[167:168], v[167:168], s[36:37], v[187:188]
	v_mul_f64 v[187:188], v[165:166], s[22:23]
	v_add_f64 v[199:200], v[213:214], v[199:200]
	v_mul_f64 v[213:214], v[153:154], s[22:23]
	v_mul_f64 v[165:166], v[165:166], s[20:21]
	v_add_f64 v[4:5], v[183:184], v[4:5]
	v_add_f64 v[14:15], v[193:194], v[14:15]
	;; [unrolled: 1-line block ×5, first 2 shown]
	v_mov_b32_e32 v248, v21
	v_mov_b32_e32 v247, v20
	;; [unrolled: 1-line block ×6, first 2 shown]
	v_add_f64 v[213:214], v[213:214], -v[217:218]
	v_add_f64 v[165:166], v[209:210], v[165:166]
	v_fma_f64 v[209:210], v[153:154], s[0:1], -v[221:222]
	v_fma_f64 v[217:218], v[153:154], s[14:15], v[157:158]
	v_fma_f64 v[157:158], v[153:154], s[14:15], -v[157:158]
	v_mul_f64 v[153:154], v[153:154], s[20:21]
	v_mul_f64 v[219:220], v[145:146], s[0:1]
	v_add_f64 v[167:168], v[187:188], v[239:240]
	v_fma_f64 v[187:188], v[136:137], s[20:21], -v[253:254]
	v_mov_b32_e32 v254, v19
	v_mov_b32_e32 v253, v18
	v_mov_b32_e32 v252, v17
	v_mov_b32_e32 v251, v16
	v_mov_b32_e32 v19, v27
	v_mov_b32_e32 v18, v30
	v_mov_b32_e32 v17, v140
	s_clause 0x4
	buffer_load_dword v140, off, s[40:43], 0 offset:128
	buffer_load_dword v241, off, s[40:43], 0 offset:124
	;; [unrolled: 1-line block ×5, first 2 shown]
	v_mov_b32_e32 v16, v255
	buffer_load_dword v255, off, s[40:43], 0 offset:132 ; 4-byte Folded Reload
	v_add_f64 v[153:154], v[153:154], -v[203:204]
	v_fma_f64 v[203:204], v[163:164], s[28:29], v[223:224]
	v_fma_f64 v[221:222], v[163:164], s[34:35], v[219:220]
	v_mul_f64 v[136:137], v[136:137], s[22:23]
	v_fma_f64 v[163:164], v[163:164], s[18:19], v[219:220]
	v_add_f64 v[145:146], v[213:214], v[233:234]
	v_add_f64 v[0:1], v[157:158], v[0:1]
	;; [unrolled: 1-line block ×7, first 2 shown]
	v_mul_f64 v[153:154], v[151:152], s[0:1]
	v_add_f64 v[136:137], v[136:137], -v[181:182]
	v_add_f64 v[112:113], v[221:222], v[116:117]
	v_fma_f64 v[116:117], v[155:156], s[24:25], v[114:115]
	v_fma_f64 v[114:115], v[155:156], s[26:27], v[114:115]
	v_mul_f64 v[155:156], v[141:142], s[0:1]
	v_mul_f64 v[151:152], v[151:152], s[14:15]
	v_add_f64 v[118:119], v[163:164], v[118:119]
	v_add_f64 v[120:121], v[120:121], v[145:146]
	;; [unrolled: 1-line block ×3, first 2 shown]
	v_mul_f64 v[132:133], v[159:160], s[0:1]
	v_mul_f64 v[145:146], v[147:148], s[0:1]
	v_add_f64 v[2:3], v[134:135], v[2:3]
	v_mul_f64 v[134:135], v[149:150], s[30:31]
	v_add_f64 v[185:186], v[187:188], v[185:186]
	v_add_f64 v[6:7], v[6:7], v[128:129]
	;; [unrolled: 1-line block ×6, first 2 shown]
	v_mul_f64 v[116:117], v[159:160], s[6:7]
	v_add_f64 v[155:156], v[155:156], -v[197:198]
	v_add_f64 v[151:152], v[177:178], v[151:152]
	v_add_f64 v[114:115], v[114:115], v[118:119]
	v_mul_f64 v[118:119], v[159:160], s[20:21]
	v_add_f64 v[132:133], v[171:172], v[132:133]
	v_add_f64 v[145:146], v[145:146], -v[169:170]
	v_fma_f64 v[138:139], v[147:148], s[6:7], v[134:135]
	v_fma_f64 v[134:135], v[147:148], s[6:7], -v[134:135]
	v_add_f64 v[8:9], v[8:9], v[185:186]
	v_add_f64 v[122:123], v[122:123], v[128:129]
	v_mul_f64 v[128:129], v[143:144], s[26:27]
	v_add_f64 v[126:127], v[153:154], v[130:131]
	v_mul_f64 v[130:131], v[147:148], s[20:21]
	v_fma_f64 v[124:125], v[161:162], s[12:13], v[116:117]
	v_fma_f64 v[116:117], v[161:162], s[30:31], v[116:117]
	v_add_f64 v[147:148], v[92:93], v[104:105]
	v_add_f64 v[104:105], v[205:206], v[14:15]
	;; [unrolled: 1-line block ×5, first 2 shown]
	v_fma_f64 v[143:144], v[141:142], s[22:23], v[128:129]
	v_fma_f64 v[128:129], v[141:142], s[22:23], -v[128:129]
	v_mul_f64 v[141:142], v[141:142], s[14:15]
	v_add_f64 v[130:131], v[130:131], -v[191:192]
	v_add_f64 v[112:113], v[124:125], v[112:113]
	v_add_f64 v[116:117], v[116:117], v[114:115]
	;; [unrolled: 1-line block ×5, first 2 shown]
	v_add_f64 v[141:142], v[141:142], -v[173:174]
	v_add_f64 v[128:129], v[94:95], v[106:107]
	v_add_f64 v[106:107], v[199:200], v[4:5]
	;; [unrolled: 1-line block ×10, first 2 shown]
	v_mul_u32_u24_e32 v0, 0xb0, v17
	v_or_b32_e32 v0, v0, v16
	v_lshl_add_u32 v0, v0, 4, v243
	v_add_f64 v[122:123], v[145:146], v[136:137]
	v_add_f64 v[118:119], v[130:131], v[141:142]
	ds_write_b128 v0, v[104:107] offset:256
	ds_write_b128 v0, v[122:125] offset:512
	;; [unrolled: 1-line block ×5, first 2 shown]
	ds_write_b128 v0, v[126:129]
	ds_write_b128 v0, v[88:91] offset:1536
	ds_write_b128 v0, v[110:113] offset:1792
	;; [unrolled: 1-line block ×5, first 2 shown]
.LBB0_5:
	s_or_b32 exec_lo, exec_lo, s33
	s_waitcnt vmcnt(5)
	v_add_co_u32 v136, s0, s2, v140
	v_add_co_ci_u32_e64 v137, null, s3, 0, s0
	s_waitcnt vmcnt(0) lgkmcnt(0)
	s_waitcnt_vscnt null, 0x0
	v_add_co_u32 v0, s0, 0x800, v136
	v_add_co_ci_u32_e64 v1, s0, 0, v137, s0
	v_add_co_u32 v2, s0, 0x1000, v136
	v_add_co_ci_u32_e64 v3, s0, 0, v137, s0
	s_barrier
	buffer_gl0_inv
	s_clause 0x1
	global_load_dwordx4 v[88:91], v[0:1], off offset:736
	global_load_dwordx4 v[92:95], v[2:3], off offset:96
	ds_read_b128 v[104:107], v242 offset:5632
	ds_read_b128 v[108:111], v242 offset:7040
	ds_read_b128 v[112:115], v242 offset:8448
	ds_read_b128 v[116:119], v242 offset:9856
	ds_read_b128 v[120:123], v242
	ds_read_b128 v[124:127], v242 offset:1408
	v_lshl_add_u32 v141, v255, 4, v140
	s_waitcnt vmcnt(1) lgkmcnt(5)
	v_mul_f64 v[0:1], v[106:107], v[90:91]
	v_mul_f64 v[4:5], v[104:105], v[90:91]
	s_waitcnt vmcnt(0) lgkmcnt(4)
	v_mul_f64 v[6:7], v[110:111], v[94:95]
	v_mul_f64 v[8:9], v[108:109], v[94:95]
	s_waitcnt lgkmcnt(3)
	v_mul_f64 v[10:11], v[114:115], v[90:91]
	v_mul_f64 v[12:13], v[112:113], v[90:91]
	s_waitcnt lgkmcnt(2)
	v_mul_f64 v[14:15], v[118:119], v[94:95]
	v_mul_f64 v[128:129], v[116:117], v[94:95]
	v_fma_f64 v[0:1], v[104:105], v[88:89], -v[0:1]
	v_fma_f64 v[4:5], v[106:107], v[88:89], v[4:5]
	v_fma_f64 v[6:7], v[108:109], v[92:93], -v[6:7]
	v_fma_f64 v[8:9], v[110:111], v[92:93], v[8:9]
	;; [unrolled: 2-line block ×4, first 2 shown]
	ds_read_b128 v[104:107], v242 offset:2816
	ds_read_b128 v[108:111], v242 offset:4224
	s_waitcnt lgkmcnt(0)
	s_barrier
	buffer_gl0_inv
	v_add_f64 v[112:113], v[120:121], -v[0:1]
	v_add_f64 v[114:115], v[122:123], -v[4:5]
	;; [unrolled: 1-line block ×4, first 2 shown]
	v_add_co_u32 v0, s0, 0x1800, v136
	v_add_f64 v[128:129], v[104:105], -v[10:11]
	v_add_f64 v[130:131], v[106:107], -v[12:13]
	;; [unrolled: 1-line block ×4, first 2 shown]
	v_add_co_ci_u32_e64 v1, s0, 0, v137, s0
	v_add_co_u32 v4, s0, 0x2000, v136
	v_add_co_ci_u32_e64 v5, s0, 0, v137, s0
	v_fma_f64 v[120:121], v[120:121], 2.0, -v[112:113]
	v_fma_f64 v[122:123], v[122:123], 2.0, -v[114:115]
	;; [unrolled: 1-line block ×8, first 2 shown]
	ds_write_b128 v242, v[112:115] offset:2816
	ds_write_b128 v242, v[116:119] offset:4224
	;; [unrolled: 1-line block ×4, first 2 shown]
	ds_write_b128 v242, v[120:123]
	ds_write_b128 v242, v[124:127] offset:1408
	ds_write_b128 v242, v[104:107] offset:5632
	;; [unrolled: 1-line block ×3, first 2 shown]
	s_waitcnt lgkmcnt(0)
	s_barrier
	buffer_gl0_inv
	s_clause 0x3
	global_load_dwordx4 v[108:111], v[2:3], off offset:1504
	global_load_dwordx4 v[104:107], v[0:1], off offset:864
	;; [unrolled: 1-line block ×4, first 2 shown]
	ds_read_b128 v[120:123], v242 offset:5632
	ds_read_b128 v[124:127], v242 offset:7040
	;; [unrolled: 1-line block ×4, first 2 shown]
	ds_read_b128 v[136:139], v242
	ds_read_b128 v[142:145], v242 offset:1408
	s_waitcnt vmcnt(3) lgkmcnt(5)
	v_mul_f64 v[0:1], v[122:123], v[110:111]
	v_mul_f64 v[2:3], v[120:121], v[110:111]
	s_waitcnt vmcnt(2) lgkmcnt(4)
	v_mul_f64 v[4:5], v[126:127], v[106:107]
	v_mul_f64 v[6:7], v[124:125], v[106:107]
	;; [unrolled: 3-line block ×4, first 2 shown]
	v_fma_f64 v[0:1], v[120:121], v[108:109], -v[0:1]
	v_fma_f64 v[2:3], v[122:123], v[108:109], v[2:3]
	v_fma_f64 v[4:5], v[124:125], v[104:105], -v[4:5]
	v_fma_f64 v[6:7], v[126:127], v[104:105], v[6:7]
	;; [unrolled: 2-line block ×3, first 2 shown]
	v_fma_f64 v[12:13], v[132:133], v[116:117], -v[12:13]
	ds_read_b128 v[120:123], v242 offset:2816
	ds_read_b128 v[124:127], v242 offset:4224
	v_fma_f64 v[14:15], v[134:135], v[116:117], v[14:15]
	s_waitcnt lgkmcnt(3)
	v_add_f64 v[128:129], v[136:137], -v[0:1]
	v_add_f64 v[130:131], v[138:139], -v[2:3]
	s_waitcnt lgkmcnt(2)
	v_add_f64 v[132:133], v[142:143], -v[4:5]
	v_add_f64 v[134:135], v[144:145], -v[6:7]
	v_add_co_u32 v0, s0, 0x2c00, v245
	s_waitcnt lgkmcnt(1)
	v_add_f64 v[146:147], v[120:121], -v[8:9]
	v_add_f64 v[148:149], v[122:123], -v[10:11]
	s_waitcnt lgkmcnt(0)
	v_add_f64 v[150:151], v[124:125], -v[12:13]
	v_add_f64 v[152:153], v[126:127], -v[14:15]
	v_add_co_ci_u32_e64 v1, s0, 0, v246, s0
	v_add_co_u32 v2, s0, 0x2800, v245
	v_add_co_ci_u32_e64 v3, s0, 0, v246, s0
	v_add_co_u32 v4, s0, 0x4000, v245
	;; [unrolled: 2-line block ×3, first 2 shown]
	v_fma_f64 v[136:137], v[136:137], 2.0, -v[128:129]
	v_fma_f64 v[138:139], v[138:139], 2.0, -v[130:131]
	v_fma_f64 v[142:143], v[142:143], 2.0, -v[132:133]
	v_fma_f64 v[144:145], v[144:145], 2.0, -v[134:135]
	v_add_co_ci_u32_e64 v7, s0, 0, v246, s0
	v_fma_f64 v[120:121], v[120:121], 2.0, -v[146:147]
	v_fma_f64 v[122:123], v[122:123], 2.0, -v[148:149]
	;; [unrolled: 1-line block ×4, first 2 shown]
	v_add_co_u32 v8, s0, 0x4800, v245
	v_add_co_ci_u32_e64 v9, s0, 0, v246, s0
	ds_write_b128 v242, v[128:131] offset:5632
	ds_write_b128 v242, v[132:135] offset:7040
	ds_write_b128 v242, v[136:139]
	ds_write_b128 v242, v[142:145] offset:1408
	ds_write_b128 v242, v[120:123] offset:2816
	;; [unrolled: 1-line block ×5, first 2 shown]
	s_waitcnt lgkmcnt(0)
	s_barrier
	buffer_gl0_inv
	global_load_dwordx4 v[120:123], v[2:3], off offset:1024
	v_add_co_u32 v2, s0, 0x3800, v245
	v_add_co_ci_u32_e64 v3, s0, 0, v246, s0
	s_clause 0x3
	global_load_dwordx4 v[124:127], v[4:5], off offset:512
	global_load_dwordx4 v[128:131], v[0:1], off offset:1408
	;; [unrolled: 1-line block ×4, first 2 shown]
	v_add_co_u32 v0, s0, 0x5000, v245
	v_add_co_ci_u32_e64 v1, s0, 0, v246, s0
	s_clause 0x2
	global_load_dwordx4 v[142:145], v[8:9], off offset:1280
	global_load_dwordx4 v[146:149], v[2:3], off offset:1152
	;; [unrolled: 1-line block ×3, first 2 shown]
	ds_read_b128 v[154:157], v242
	ds_read_b128 v[158:161], v242 offset:5632
	ds_read_b128 v[162:165], v242 offset:1408
	;; [unrolled: 1-line block ×7, first 2 shown]
	s_waitcnt vmcnt(7) lgkmcnt(7)
	v_mul_f64 v[0:1], v[156:157], v[122:123]
	v_mul_f64 v[2:3], v[154:155], v[122:123]
	s_waitcnt vmcnt(6) lgkmcnt(6)
	v_mul_f64 v[4:5], v[160:161], v[126:127]
	v_mul_f64 v[6:7], v[158:159], v[126:127]
	;; [unrolled: 3-line block ×8, first 2 shown]
	v_fma_f64 v[152:153], v[154:155], v[120:121], -v[0:1]
	v_fma_f64 v[154:155], v[156:157], v[120:121], v[2:3]
	v_fma_f64 v[120:121], v[158:159], v[124:125], -v[4:5]
	v_fma_f64 v[122:123], v[160:161], v[124:125], v[6:7]
	;; [unrolled: 2-line block ×8, first 2 shown]
	ds_write_b128 v242, v[152:155]
	ds_write_b128 v242, v[120:123] offset:5632
	ds_write_b128 v242, v[124:127] offset:1408
	;; [unrolled: 1-line block ×7, first 2 shown]
	s_waitcnt lgkmcnt(0)
	s_barrier
	buffer_gl0_inv
	ds_read_b128 v[120:123], v242 offset:5632
	ds_read_b128 v[124:127], v242
	ds_read_b128 v[128:131], v242 offset:1408
	ds_read_b128 v[132:135], v242 offset:7040
	;; [unrolled: 1-line block ×6, first 2 shown]
	s_waitcnt lgkmcnt(0)
	s_barrier
	buffer_gl0_inv
	v_add_f64 v[120:121], v[124:125], -v[120:121]
	v_add_f64 v[122:123], v[126:127], -v[122:123]
	v_add_f64 v[132:133], v[128:129], -v[132:133]
	v_add_f64 v[134:135], v[130:131], -v[134:135]
	v_add_f64 v[136:137], v[142:143], -v[136:137]
	v_add_f64 v[138:139], v[144:145], -v[138:139]
	v_add_f64 v[150:151], v[146:147], -v[150:151]
	v_add_f64 v[152:153], v[148:149], -v[152:153]
	v_fma_f64 v[124:125], v[124:125], 2.0, -v[120:121]
	v_fma_f64 v[126:127], v[126:127], 2.0, -v[122:123]
	;; [unrolled: 1-line block ×8, first 2 shown]
	ds_write_b128 v18, v[120:123] offset:16
	ds_write_b128 v18, v[124:127]
	ds_write_b128 v21, v[128:131]
	ds_write_b128 v21, v[132:135] offset:16
	ds_write_b128 v20, v[142:145]
	ds_write_b128 v20, v[136:139] offset:16
	;; [unrolled: 2-line block ×3, first 2 shown]
	s_waitcnt lgkmcnt(0)
	s_barrier
	buffer_gl0_inv
	ds_read_b128 v[120:123], v242 offset:5632
	ds_read_b128 v[124:127], v242 offset:7040
	;; [unrolled: 1-line block ×4, first 2 shown]
	ds_read_b128 v[136:139], v242
	ds_read_b128 v[142:145], v242 offset:1408
	s_waitcnt lgkmcnt(5)
	v_mul_f64 v[0:1], v[34:35], v[122:123]
	v_mul_f64 v[2:3], v[34:35], v[120:121]
	s_waitcnt lgkmcnt(4)
	v_mul_f64 v[4:5], v[34:35], v[126:127]
	v_mul_f64 v[6:7], v[34:35], v[124:125]
	;; [unrolled: 3-line block ×4, first 2 shown]
	v_fma_f64 v[0:1], v[32:33], v[120:121], v[0:1]
	v_fma_f64 v[2:3], v[32:33], v[122:123], -v[2:3]
	v_fma_f64 v[4:5], v[32:33], v[124:125], v[4:5]
	v_fma_f64 v[6:7], v[32:33], v[126:127], -v[6:7]
	;; [unrolled: 2-line block ×3, first 2 shown]
	v_fma_f64 v[12:13], v[32:33], v[132:133], v[12:13]
	ds_read_b128 v[120:123], v242 offset:2816
	v_fma_f64 v[14:15], v[32:33], v[134:135], -v[14:15]
	ds_read_b128 v[32:35], v242 offset:4224
	s_waitcnt lgkmcnt(0)
	s_barrier
	buffer_gl0_inv
	v_add_f64 v[124:125], v[136:137], -v[0:1]
	v_add_f64 v[126:127], v[138:139], -v[2:3]
	;; [unrolled: 1-line block ×8, first 2 shown]
	v_fma_f64 v[136:137], v[136:137], 2.0, -v[124:125]
	v_fma_f64 v[138:139], v[138:139], 2.0, -v[126:127]
	;; [unrolled: 1-line block ×8, first 2 shown]
	ds_write_b128 v28, v[124:127] offset:32
	ds_write_b128 v28, v[136:139]
	ds_write_b128 v22, v[142:145]
	ds_write_b128 v22, v[128:131] offset:32
	ds_write_b128 v24, v[120:123]
	ds_write_b128 v24, v[132:135] offset:32
	;; [unrolled: 2-line block ×3, first 2 shown]
	s_waitcnt lgkmcnt(0)
	s_barrier
	buffer_gl0_inv
	ds_read_b128 v[32:35], v242 offset:5632
	ds_read_b128 v[120:123], v242 offset:7040
	;; [unrolled: 1-line block ×4, first 2 shown]
	ds_read_b128 v[132:135], v242
	ds_read_b128 v[136:139], v242 offset:1408
	s_waitcnt lgkmcnt(5)
	v_mul_f64 v[0:1], v[42:43], v[34:35]
	v_mul_f64 v[2:3], v[42:43], v[32:33]
	s_waitcnt lgkmcnt(4)
	v_mul_f64 v[4:5], v[42:43], v[122:123]
	v_mul_f64 v[6:7], v[42:43], v[120:121]
	s_waitcnt lgkmcnt(3)
	v_mul_f64 v[8:9], v[42:43], v[126:127]
	v_mul_f64 v[10:11], v[42:43], v[124:125]
	s_waitcnt lgkmcnt(2)
	v_mul_f64 v[12:13], v[42:43], v[130:131]
	v_mul_f64 v[14:15], v[42:43], v[128:129]
	v_fma_f64 v[0:1], v[40:41], v[32:33], v[0:1]
	v_fma_f64 v[2:3], v[40:41], v[34:35], -v[2:3]
	v_fma_f64 v[4:5], v[40:41], v[120:121], v[4:5]
	v_fma_f64 v[6:7], v[40:41], v[122:123], -v[6:7]
	;; [unrolled: 2-line block ×3, first 2 shown]
	v_fma_f64 v[12:13], v[40:41], v[128:129], v[12:13]
	ds_read_b128 v[32:35], v242 offset:2816
	v_fma_f64 v[14:15], v[40:41], v[130:131], -v[14:15]
	ds_read_b128 v[40:43], v242 offset:4224
	s_waitcnt lgkmcnt(0)
	s_barrier
	buffer_gl0_inv
	v_add_f64 v[120:121], v[132:133], -v[0:1]
	v_add_f64 v[122:123], v[134:135], -v[2:3]
	;; [unrolled: 1-line block ×8, first 2 shown]
	v_fma_f64 v[132:133], v[132:133], 2.0, -v[120:121]
	v_fma_f64 v[134:135], v[134:135], 2.0, -v[122:123]
	;; [unrolled: 1-line block ×8, first 2 shown]
	ds_write_b128 v248, v[120:123] offset:64
	ds_write_b128 v248, v[132:135]
	ds_write_b128 v244, v[136:139]
	ds_write_b128 v244, v[124:127] offset:64
	ds_write_b128 v31, v[32:35]
	ds_write_b128 v31, v[128:131] offset:64
	ds_write_b128 v30, v[40:43]
	ds_write_b128 v30, v[142:145] offset:64
	s_waitcnt lgkmcnt(0)
	s_barrier
	buffer_gl0_inv
	ds_read_b128 v[32:35], v242 offset:5632
	ds_read_b128 v[40:43], v242 offset:7040
	;; [unrolled: 1-line block ×4, first 2 shown]
	ds_read_b128 v[128:131], v242
	ds_read_b128 v[136:139], v242 offset:1408
	ds_read_b128 v[142:145], v242 offset:2816
	;; [unrolled: 1-line block ×3, first 2 shown]
	s_waitcnt lgkmcnt(0)
	s_barrier
	buffer_gl0_inv
	v_mul_f64 v[0:1], v[46:47], v[34:35]
	v_mul_f64 v[2:3], v[46:47], v[32:33]
	;; [unrolled: 1-line block ×8, first 2 shown]
	v_fma_f64 v[0:1], v[44:45], v[32:33], v[0:1]
	v_fma_f64 v[2:3], v[44:45], v[34:35], -v[2:3]
	v_fma_f64 v[4:5], v[44:45], v[40:41], v[4:5]
	v_fma_f64 v[6:7], v[44:45], v[42:43], -v[6:7]
	;; [unrolled: 2-line block ×4, first 2 shown]
	v_add_f64 v[40:41], v[128:129], -v[0:1]
	v_add_f64 v[42:43], v[130:131], -v[2:3]
	v_add_f64 v[44:45], v[136:137], -v[4:5]
	v_add_f64 v[46:47], v[138:139], -v[6:7]
	v_add_f64 v[124:125], v[142:143], -v[8:9]
	v_add_f64 v[126:127], v[144:145], -v[10:11]
	v_add_f64 v[132:133], v[146:147], -v[12:13]
	v_add_f64 v[134:135], v[148:149], -v[14:15]
	v_fma_f64 v[32:33], v[128:129], 2.0, -v[40:41]
	v_fma_f64 v[34:35], v[130:131], 2.0, -v[42:43]
	;; [unrolled: 1-line block ×8, first 2 shown]
	ds_write_b128 v26, v[40:43] offset:128
	ds_write_b128 v26, v[32:35]
	ds_write_b128 v29, v[120:123]
	ds_write_b128 v29, v[44:47] offset:128
	ds_write_b128 v27, v[128:131]
	ds_write_b128 v27, v[124:127] offset:128
	;; [unrolled: 2-line block ×3, first 2 shown]
	s_waitcnt lgkmcnt(0)
	s_barrier
	buffer_gl0_inv
	s_and_saveexec_b32 s0, vcc_lo
	s_cbranch_execz .LBB0_7
; %bb.6:
	ds_read_b128 v[32:35], v242
	ds_read_b128 v[40:43], v242 offset:1024
	ds_read_b128 v[120:123], v242 offset:2048
	;; [unrolled: 1-line block ×10, first 2 shown]
.LBB0_7:
	s_or_b32 exec_lo, exec_lo, s0
	v_add_nc_u32_e32 v142, 0xb00, v141
	v_add_nc_u32_e32 v141, 0x1080, v141
	s_waitcnt lgkmcnt(0)
	s_barrier
	buffer_gl0_inv
	s_and_saveexec_b32 s33, vcc_lo
	s_cbranch_execz .LBB0_9
; %bb.8:
	v_mul_f64 v[0:1], v[38:39], v[42:43]
	v_mul_f64 v[2:3], v[58:59], v[86:87]
	;; [unrolled: 1-line block ×17, first 2 shown]
	s_mov_b32 s22, 0xfd768dbf
	s_mov_b32 s23, 0xbfd207e7
	;; [unrolled: 1-line block ×5, first 2 shown]
	v_fma_f64 v[0:1], v[36:37], v[40:41], v[0:1]
	v_fma_f64 v[38:39], v[56:57], v[84:85], v[2:3]
	v_mul_f64 v[2:3], v[62:63], v[46:47]
	v_mul_f64 v[84:85], v[74:75], v[102:103]
	v_fma_f64 v[62:63], v[68:69], v[124:125], v[4:5]
	v_fma_f64 v[58:59], v[76:77], v[136:137], v[6:7]
	v_mul_f64 v[74:75], v[74:75], v[100:101]
	v_fma_f64 v[8:9], v[68:69], v[126:127], -v[8:9]
	v_fma_f64 v[4:5], v[48:49], v[120:121], v[78:79]
	v_fma_f64 v[40:41], v[52:53], v[96:97], v[82:83]
	v_fma_f64 v[6:7], v[36:37], v[42:43], -v[143:144]
	v_fma_f64 v[36:37], v[56:57], v[86:87], -v[145:146]
	v_fma_f64 v[56:57], v[76:77], v[138:139], -v[10:11]
	v_fma_f64 v[12:13], v[64:65], v[128:129], v[12:13]
	v_fma_f64 v[50:51], v[80:81], v[132:133], v[14:15]
	v_fma_f64 v[14:15], v[64:65], v[130:131], -v[66:67]
	v_fma_f64 v[48:49], v[48:49], v[122:123], -v[149:150]
	;; [unrolled: 1-line block ×3, first 2 shown]
	s_mov_b32 s15, 0x3fe14ced
	s_mov_b32 s7, 0xbfeeb42a
	s_mov_b32 s19, 0xbfe82f19
	s_mov_b32 s12, 0x8764f0ba
	s_mov_b32 s2, 0x7f775887
	v_add_f64 v[10:11], v[0:1], -v[38:39]
	v_fma_f64 v[2:3], v[60:61], v[44:45], v[2:3]
	v_fma_f64 v[44:45], v[72:73], v[100:101], v[84:85]
	v_fma_f64 v[60:61], v[60:61], v[46:47], -v[147:148]
	s_mov_b32 s13, 0x3feaeb8c
	v_fma_f64 v[46:47], v[72:73], v[102:103], -v[74:75]
	v_add_f64 v[102:103], v[0:1], v[38:39]
	s_mov_b32 s3, 0xbfe4f49e
	v_add_f64 v[52:53], v[4:5], -v[40:41]
	s_mov_b32 s27, 0x3fefac9e
	v_add_f64 v[64:65], v[6:7], -v[36:37]
	v_add_f64 v[66:67], v[6:7], v[36:37]
	s_mov_b32 s26, s16
	v_fma_f64 v[54:55], v[80:81], v[134:135], -v[70:71]
	v_add_f64 v[130:131], v[4:5], v[40:41]
	v_add_f64 v[72:73], v[12:13], -v[50:51]
	v_add_f64 v[82:83], v[48:49], -v[42:43]
	v_add_f64 v[98:99], v[48:49], v[42:43]
	s_mov_b32 s0, 0x640f44db
	s_mov_b32 s1, 0xbfc2375f
	;; [unrolled: 1-line block ×4, first 2 shown]
	v_mul_f64 v[68:69], v[10:11], s[22:23]
	v_mul_f64 v[143:144], v[10:11], s[18:19]
	v_add_f64 v[74:75], v[2:3], -v[44:45]
	v_mul_f64 v[177:178], v[10:11], s[16:17]
	s_mov_b32 s25, 0x3fed1bb4
	v_add_f64 v[80:81], v[60:61], -v[46:47]
	v_add_f64 v[96:97], v[60:61], v[46:47]
	s_mov_b32 s24, 0x8eee2c13
	v_mul_f64 v[120:121], v[52:53], s[14:15]
	v_mul_f64 v[159:160], v[52:53], s[26:27]
	;; [unrolled: 1-line block ×5, first 2 shown]
	s_mov_b32 s29, 0xbfe14ced
	s_mov_b32 s28, s14
	v_add_f64 v[78:79], v[14:15], -v[54:55]
	v_mul_f64 v[149:150], v[82:83], s[14:15]
	v_add_f64 v[126:127], v[2:3], v[44:45]
	v_add_f64 v[6:7], v[34:35], v[6:7]
	;; [unrolled: 1-line block ×3, first 2 shown]
	v_mul_f64 v[171:172], v[82:83], s[26:27]
	v_mul_f64 v[179:180], v[52:53], s[30:31]
	v_fma_f64 v[128:129], v[66:67], s[6:7], v[68:69]
	v_fma_f64 v[68:69], v[66:67], s[6:7], -v[68:69]
	v_mul_f64 v[136:137], v[74:75], s[18:19]
	v_fma_f64 v[181:182], v[66:67], s[2:3], v[143:144]
	v_fma_f64 v[143:144], v[66:67], s[2:3], -v[143:144]
	v_mul_f64 v[147:148], v[80:81], s[18:19]
	v_add_f64 v[70:71], v[62:63], -v[58:59]
	v_add_f64 v[86:87], v[14:15], v[54:55]
	v_fma_f64 v[163:164], v[98:99], s[12:13], v[120:121]
	v_fma_f64 v[120:121], v[98:99], s[12:13], -v[120:121]
	v_fma_f64 v[165:166], v[102:103], s[6:7], -v[122:123]
	v_fma_f64 v[122:123], v[102:103], s[6:7], v[122:123]
	v_fma_f64 v[195:196], v[102:103], s[2:3], -v[157:158]
	v_fma_f64 v[157:158], v[102:103], s[2:3], v[157:158]
	v_mul_f64 v[134:135], v[72:73], s[24:25]
	v_mul_f64 v[155:156], v[74:75], s[28:29]
	v_fma_f64 v[193:194], v[130:131], s[12:13], -v[149:150]
	v_fma_f64 v[149:150], v[130:131], s[12:13], v[149:150]
	v_mul_f64 v[187:188], v[82:83], s[30:31]
	v_fma_f64 v[197:198], v[98:99], s[0:1], v[159:160]
	v_fma_f64 v[203:204], v[102:103], s[0:1], -v[189:190]
	s_mov_b32 s20, 0xd9c712b6
	v_add_f64 v[128:129], v[34:35], v[128:129]
	v_add_f64 v[68:69], v[34:35], v[68:69]
	v_fma_f64 v[191:192], v[96:97], s[2:3], v[136:137]
	v_add_f64 v[181:182], v[34:35], v[181:182]
	s_mov_b32 s21, 0x3fda9628
	v_add_f64 v[124:125], v[12:13], v[50:51]
	v_mul_f64 v[145:146], v[78:79], s[24:25]
	v_mul_f64 v[169:170], v[80:81], s[28:29]
	;; [unrolled: 1-line block ×3, first 2 shown]
	v_add_f64 v[6:7], v[6:7], v[48:49]
	v_add_f64 v[165:166], v[32:33], v[165:166]
	v_add_f64 v[122:123], v[32:33], v[122:123]
	v_add_f64 v[0:1], v[0:1], v[4:5]
	v_fma_f64 v[201:202], v[126:127], s[2:3], -v[147:148]
	v_fma_f64 v[136:137], v[96:97], s[2:3], -v[136:137]
	v_fma_f64 v[147:148], v[126:127], s[2:3], v[147:148]
	v_fma_f64 v[205:206], v[130:131], s[0:1], -v[171:172]
	v_add_f64 v[195:196], v[32:33], v[195:196]
	v_fma_f64 v[159:160], v[98:99], s[0:1], -v[159:160]
	v_add_f64 v[143:144], v[34:35], v[143:144]
	v_add_f64 v[84:85], v[8:9], v[56:57]
	v_mul_f64 v[132:133], v[70:71], s[16:17]
	v_add_f64 v[128:129], v[163:164], v[128:129]
	v_fma_f64 v[163:164], v[66:67], s[0:1], v[177:178]
	v_add_f64 v[68:69], v[120:121], v[68:69]
	v_mul_f64 v[185:186], v[80:81], s[24:25]
	v_fma_f64 v[48:49], v[86:87], s[20:21], v[134:135]
	v_fma_f64 v[171:172], v[130:131], s[0:1], v[171:172]
	v_add_f64 v[181:182], v[197:198], v[181:182]
	v_add_f64 v[197:198], v[32:33], v[203:204]
	v_add_f64 v[76:77], v[8:9], -v[56:57]
	v_mul_f64 v[153:154], v[72:73], s[22:23]
	v_add_f64 v[165:166], v[193:194], v[165:166]
	v_add_f64 v[120:121], v[149:150], v[122:123]
	v_fma_f64 v[193:194], v[130:131], s[6:7], -v[187:188]
	v_mul_f64 v[167:168], v[78:79], s[22:23]
	v_mul_f64 v[173:174], v[72:73], s[28:29]
	v_fma_f64 v[149:150], v[124:125], s[20:21], -v[145:146]
	v_fma_f64 v[134:135], v[86:87], s[20:21], -v[134:135]
	v_fma_f64 v[145:146], v[124:125], s[20:21], v[145:146]
	v_fma_f64 v[203:204], v[126:127], s[12:13], -v[169:170]
	v_add_f64 v[195:196], v[205:206], v[195:196]
	v_add_f64 v[143:144], v[159:160], v[143:144]
	v_add_f64 v[6:7], v[6:7], v[60:61]
	v_add_f64 v[122:123], v[191:192], v[128:129]
	v_add_f64 v[128:129], v[32:33], v[157:158]
	v_fma_f64 v[157:158], v[98:99], s[6:7], v[179:180]
	v_add_f64 v[163:164], v[34:35], v[163:164]
	v_fma_f64 v[191:192], v[96:97], s[12:13], v[155:156]
	v_fma_f64 v[155:156], v[96:97], s[12:13], -v[155:156]
	v_add_f64 v[68:69], v[136:137], v[68:69]
	v_add_f64 v[0:1], v[0:1], v[2:3]
	v_mul_f64 v[183:184], v[78:79], s[28:29]
	v_fma_f64 v[4:5], v[84:85], s[0:1], v[132:133]
	v_add_f64 v[159:160], v[201:202], v[165:166]
	v_add_f64 v[120:121], v[147:148], v[120:121]
	v_fma_f64 v[147:148], v[102:103], s[0:1], v[189:190]
	v_fma_f64 v[165:166], v[96:97], s[20:21], v[175:176]
	;; [unrolled: 1-line block ×3, first 2 shown]
	v_add_f64 v[189:190], v[193:194], v[197:198]
	v_mul_f64 v[151:152], v[70:71], s[24:25]
	v_mul_f64 v[161:162], v[76:77], s[24:25]
	s_mov_b32 s25, 0xbfed1bb4
	v_add_f64 v[100:101], v[62:63], v[58:59]
	v_fma_f64 v[136:137], v[86:87], s[6:7], v[153:154]
	v_fma_f64 v[153:154], v[86:87], s[6:7], -v[153:154]
	v_add_f64 v[48:49], v[48:49], v[122:123]
	v_add_f64 v[122:123], v[171:172], v[128:129]
	;; [unrolled: 1-line block ×5, first 2 shown]
	v_fma_f64 v[181:182], v[126:127], s[20:21], -v[185:186]
	v_fma_f64 v[163:164], v[124:125], s[6:7], -v[167:168]
	v_add_f64 v[143:144], v[155:156], v[143:144]
	v_add_f64 v[68:69], v[134:135], v[68:69]
	v_fma_f64 v[134:135], v[130:131], s[6:7], v[187:188]
	v_add_f64 v[6:7], v[6:7], v[14:15]
	v_add_f64 v[120:121], v[145:146], v[120:121]
	;; [unrolled: 1-line block ×3, first 2 shown]
	v_fma_f64 v[147:148], v[86:87], s[12:13], v[173:174]
	v_add_f64 v[0:1], v[0:1], v[12:13]
	v_fma_f64 v[177:178], v[66:67], s[0:1], -v[177:178]
	v_fma_f64 v[167:168], v[124:125], s[6:7], v[167:168]
	v_mul_f64 v[12:13], v[64:65], s[28:29]
	v_mul_f64 v[14:15], v[64:65], s[24:25]
	v_fma_f64 v[179:180], v[98:99], s[6:7], -v[179:180]
	v_fma_f64 v[128:129], v[84:85], s[20:21], v[151:152]
	v_fma_f64 v[64:65], v[84:85], s[20:21], -v[151:152]
	v_add_f64 v[48:49], v[4:5], v[48:49]
	v_add_f64 v[4:5], v[169:170], v[122:123]
	v_fma_f64 v[151:152], v[96:97], s[20:21], -v[175:176]
	v_add_f64 v[155:156], v[165:166], v[157:158]
	v_mul_f64 v[157:158], v[10:11], s[24:25]
	v_fma_f64 v[165:166], v[124:125], s[12:13], -v[183:184]
	v_add_f64 v[169:170], v[181:182], v[189:190]
	v_mul_f64 v[10:11], v[10:11], s[28:29]
	v_add_f64 v[136:137], v[136:137], v[171:172]
	v_fma_f64 v[171:172], v[100:101], s[20:21], -v[161:162]
	v_add_f64 v[60:61], v[163:164], v[60:61]
	v_add_f64 v[143:144], v[153:154], v[143:144]
	v_fma_f64 v[153:154], v[100:101], s[20:21], v[161:162]
	v_fma_f64 v[161:162], v[126:127], s[20:21], v[185:186]
	v_add_f64 v[134:135], v[134:135], v[145:146]
	v_add_f64 v[6:7], v[6:7], v[8:9]
	;; [unrolled: 1-line block ×4, first 2 shown]
	v_fma_f64 v[8:9], v[102:103], s[12:13], v[12:13]
	v_fma_f64 v[62:63], v[102:103], s[20:21], v[14:15]
	v_fma_f64 v[14:15], v[102:103], s[20:21], -v[14:15]
	v_fma_f64 v[12:13], v[102:103], s[12:13], -v[12:13]
	v_mul_f64 v[102:103], v[74:75], s[30:31]
	v_add_f64 v[4:5], v[167:168], v[4:5]
	v_mul_f64 v[167:168], v[82:83], s[18:19]
	v_add_f64 v[147:148], v[147:148], v[155:156]
	v_mul_f64 v[155:156], v[52:53], s[18:19]
	v_fma_f64 v[163:164], v[66:67], s[20:21], -v[157:158]
	v_add_f64 v[165:166], v[165:166], v[169:170]
	v_mul_f64 v[52:53], v[52:53], s[24:25]
	v_fma_f64 v[169:170], v[66:67], s[12:13], -v[10:11]
	v_mul_f64 v[82:83], v[82:83], s[24:25]
	v_fma_f64 v[157:158], v[66:67], s[20:21], v[157:158]
	v_fma_f64 v[10:11], v[66:67], s[12:13], v[10:11]
	v_mul_f64 v[74:75], v[74:75], s[16:17]
	v_mul_f64 v[138:139], v[76:77], s[16:17]
	v_add_f64 v[66:67], v[161:162], v[134:135]
	v_add_f64 v[6:7], v[6:7], v[56:57]
	;; [unrolled: 1-line block ×4, first 2 shown]
	v_mul_f64 v[134:135], v[80:81], s[30:31]
	v_mul_f64 v[80:81], v[80:81], s[16:17]
	v_add_f64 v[8:9], v[32:33], v[8:9]
	v_add_f64 v[56:57], v[32:33], v[62:63]
	;; [unrolled: 1-line block ×4, first 2 shown]
	v_fma_f64 v[177:178], v[130:131], s[2:3], v[167:168]
	v_mul_f64 v[32:33], v[72:73], s[26:27]
	v_fma_f64 v[161:162], v[98:99], s[2:3], -v[155:156]
	v_add_f64 v[163:164], v[34:35], v[163:164]
	v_fma_f64 v[58:59], v[98:99], s[2:3], v[155:156]
	v_fma_f64 v[179:180], v[98:99], s[20:21], -v[52:53]
	v_add_f64 v[169:170], v[34:35], v[169:170]
	v_fma_f64 v[181:182], v[130:131], s[20:21], v[82:83]
	v_add_f64 v[62:63], v[34:35], v[157:158]
	v_fma_f64 v[155:156], v[130:131], s[2:3], -v[167:168]
	v_fma_f64 v[52:53], v[98:99], s[20:21], v[52:53]
	v_add_f64 v[10:11], v[34:35], v[10:11]
	v_fma_f64 v[34:35], v[130:131], s[20:21], -v[82:83]
	v_fma_f64 v[98:99], v[96:97], s[6:7], -v[102:103]
	v_add_f64 v[6:7], v[6:7], v[54:55]
	v_add_f64 v[0:1], v[0:1], v[50:51]
	v_mul_f64 v[82:83], v[78:79], s[26:27]
	v_mul_f64 v[72:73], v[72:73], s[18:19]
	;; [unrolled: 1-line block ×3, first 2 shown]
	v_fma_f64 v[167:168], v[126:127], s[0:1], v[80:81]
	v_fma_f64 v[157:158], v[126:127], s[6:7], v[134:135]
	;; [unrolled: 1-line block ×3, first 2 shown]
	v_add_f64 v[50:51], v[177:178], v[56:57]
	v_add_f64 v[2:3], v[151:152], v[2:3]
	v_fma_f64 v[151:152], v[124:125], s[12:13], v[183:184]
	v_add_f64 v[130:131], v[161:162], v[163:164]
	v_fma_f64 v[161:162], v[96:97], s[0:1], -v[74:75]
	v_add_f64 v[149:150], v[149:150], v[159:160]
	v_add_f64 v[163:164], v[179:180], v[169:170]
	;; [unrolled: 1-line block ×4, first 2 shown]
	v_fma_f64 v[58:59], v[126:127], s[6:7], -v[134:135]
	v_add_f64 v[14:15], v[155:156], v[14:15]
	v_fma_f64 v[62:63], v[96:97], s[0:1], v[74:75]
	v_add_f64 v[10:11], v[52:53], v[10:11]
	v_fma_f64 v[52:53], v[126:127], s[0:1], -v[80:81]
	v_add_f64 v[12:13], v[34:35], v[12:13]
	v_mul_f64 v[34:35], v[70:71], s[14:15]
	v_fma_f64 v[80:81], v[86:87], s[0:1], -v[32:33]
	v_add_f64 v[6:7], v[6:7], v[46:47]
	v_add_f64 v[0:1], v[0:1], v[44:45]
	v_mul_f64 v[122:123], v[70:71], s[18:19]
	v_mul_f64 v[159:160], v[76:77], s[18:19]
	;; [unrolled: 1-line block ×5, first 2 shown]
	v_fma_f64 v[102:103], v[86:87], s[2:3], -v[72:73]
	v_add_f64 v[96:97], v[98:99], v[130:131]
	v_fma_f64 v[130:131], v[124:125], s[2:3], v[78:79]
	v_fma_f64 v[173:174], v[86:87], s[12:13], -v[173:174]
	v_add_f64 v[126:127], v[161:162], v[163:164]
	v_add_f64 v[8:9], v[167:168], v[8:9]
	v_fma_f64 v[98:99], v[124:125], s[0:1], v[82:83]
	v_add_f64 v[44:45], v[157:158], v[50:51]
	v_fma_f64 v[32:33], v[86:87], s[0:1], v[32:33]
	v_add_f64 v[46:47], v[54:55], v[56:57]
	v_fma_f64 v[50:51], v[124:125], s[0:1], -v[82:83]
	v_add_f64 v[14:15], v[58:59], v[14:15]
	v_fma_f64 v[54:55], v[86:87], s[2:3], v[72:73]
	v_add_f64 v[10:11], v[62:63], v[10:11]
	v_fma_f64 v[56:57], v[124:125], s[2:3], -v[78:79]
	v_add_f64 v[12:13], v[52:53], v[12:13]
	v_fma_f64 v[132:133], v[84:85], s[0:1], -v[132:133]
	;; [unrolled: 2-line block ×3, first 2 shown]
	v_add_f64 v[6:7], v[6:7], v[42:43]
	v_add_f64 v[0:1], v[0:1], v[40:41]
	v_fma_f64 v[82:83], v[84:85], s[6:7], -v[70:71]
	v_fma_f64 v[58:59], v[84:85], s[2:3], -v[122:123]
	v_add_f64 v[66:67], v[80:81], v[96:97]
	v_fma_f64 v[96:97], v[100:101], s[6:7], v[76:77]
	v_add_f64 v[2:3], v[173:174], v[2:3]
	v_add_f64 v[86:87], v[102:103], v[126:127]
	;; [unrolled: 1-line block ×3, first 2 shown]
	v_fma_f64 v[80:81], v[100:101], s[12:13], v[74:75]
	v_add_f64 v[44:45], v[98:99], v[44:45]
	v_fma_f64 v[72:73], v[100:101], s[2:3], v[159:160]
	v_fma_f64 v[199:200], v[100:101], s[0:1], -v[138:139]
	v_fma_f64 v[138:139], v[100:101], s[0:1], v[138:139]
	v_fma_f64 v[145:146], v[84:85], s[2:3], v[122:123]
	v_fma_f64 v[175:176], v[100:101], s[2:3], -v[159:160]
	v_fma_f64 v[98:99], v[84:85], s[12:13], v[34:35]
	v_add_f64 v[102:103], v[32:33], v[46:47]
	v_fma_f64 v[74:75], v[100:101], s[12:13], -v[74:75]
	v_add_f64 v[14:15], v[50:51], v[14:15]
	v_fma_f64 v[84:85], v[84:85], s[6:7], v[70:71]
	v_add_f64 v[10:11], v[54:55], v[10:11]
	v_fma_f64 v[100:101], v[100:101], s[6:7], -v[76:77]
	v_add_f64 v[12:13], v[56:57], v[12:13]
	v_add_f64 v[34:35], v[132:133], v[68:69]
	;; [unrolled: 1-line block ×16, first 2 shown]
	v_mul_u32_u24_e32 v0, 0xb0, v17
	v_add_f64 v[38:39], v[145:146], v[147:148]
	v_add_f64 v[36:37], v[175:176], v[165:166]
	v_add_f64 v[72:73], v[98:99], v[102:103]
	v_add_f64 v[70:71], v[74:75], v[14:15]
	v_add_f64 v[76:77], v[84:85], v[10:11]
	v_add_f64 v[74:75], v[100:101], v[12:13]
	v_or_b32_e32 v0, v0, v16
	v_lshl_add_u32 v0, v0, 4, v243
	ds_write_b128 v0, v[66:69]
	ds_write_b128 v0, v[62:65] offset:256
	ds_write_b128 v0, v[58:61] offset:512
	;; [unrolled: 1-line block ×10, first 2 shown]
.LBB0_9:
	s_or_b32 exec_lo, exec_lo, s33
	s_waitcnt lgkmcnt(0)
	s_barrier
	buffer_gl0_inv
	ds_read_b128 v[32:35], v242 offset:5632
	ds_read_b128 v[36:39], v242 offset:7040
	;; [unrolled: 1-line block ×4, first 2 shown]
	ds_read_b128 v[48:51], v242
	ds_read_b128 v[52:55], v242 offset:1408
	s_mul_i32 s1, s9, 0x1600
	s_mul_hi_u32 s2, s8, 0x1600
	s_mul_i32 s0, s8, 0x1600
	s_add_i32 s1, s2, s1
	s_mul_hi_u32 s6, s8, 0xffffef80
	s_mul_i32 s3, s9, 0xffffef80
	s_mul_i32 s7, s8, 0xffffef80
	s_sub_i32 s2, s6, s8
	s_waitcnt lgkmcnt(5)
	v_mul_f64 v[0:1], v[90:91], v[34:35]
	v_mul_f64 v[2:3], v[90:91], v[32:33]
	s_waitcnt lgkmcnt(4)
	v_mul_f64 v[4:5], v[94:95], v[38:39]
	v_mul_f64 v[6:7], v[94:95], v[36:37]
	;; [unrolled: 3-line block ×4, first 2 shown]
	v_fma_f64 v[0:1], v[88:89], v[32:33], v[0:1]
	v_fma_f64 v[2:3], v[88:89], v[34:35], -v[2:3]
	v_fma_f64 v[4:5], v[92:93], v[36:37], v[4:5]
	v_fma_f64 v[6:7], v[92:93], v[38:39], -v[6:7]
	;; [unrolled: 2-line block ×4, first 2 shown]
	ds_read_b128 v[32:35], v242 offset:2816
	ds_read_b128 v[36:39], v242 offset:4224
	s_waitcnt lgkmcnt(0)
	s_barrier
	buffer_gl0_inv
	v_add_f64 v[40:41], v[48:49], -v[0:1]
	v_add_f64 v[42:43], v[50:51], -v[2:3]
	;; [unrolled: 1-line block ×8, first 2 shown]
	v_fma_f64 v[48:49], v[48:49], 2.0, -v[40:41]
	v_fma_f64 v[50:51], v[50:51], 2.0, -v[42:43]
	;; [unrolled: 1-line block ×8, first 2 shown]
	ds_write_b128 v242, v[40:43] offset:2816
	ds_write_b128 v242, v[44:47] offset:4224
	;; [unrolled: 1-line block ×4, first 2 shown]
	ds_write_b128 v242, v[48:51]
	ds_write_b128 v242, v[52:55] offset:1408
	ds_write_b128 v242, v[32:35] offset:5632
	;; [unrolled: 1-line block ×3, first 2 shown]
	s_waitcnt lgkmcnt(0)
	s_barrier
	buffer_gl0_inv
	ds_read_b128 v[32:35], v242 offset:5632
	ds_read_b128 v[36:39], v242 offset:7040
	;; [unrolled: 1-line block ×4, first 2 shown]
	ds_read_b128 v[48:51], v242
	ds_read_b128 v[52:55], v242 offset:1408
	s_waitcnt lgkmcnt(5)
	v_mul_f64 v[0:1], v[110:111], v[34:35]
	v_mul_f64 v[2:3], v[110:111], v[32:33]
	s_waitcnt lgkmcnt(4)
	v_mul_f64 v[4:5], v[106:107], v[38:39]
	v_mul_f64 v[6:7], v[106:107], v[36:37]
	;; [unrolled: 3-line block ×4, first 2 shown]
	v_fma_f64 v[0:1], v[108:109], v[32:33], v[0:1]
	v_fma_f64 v[2:3], v[108:109], v[34:35], -v[2:3]
	v_fma_f64 v[4:5], v[104:105], v[36:37], v[4:5]
	v_fma_f64 v[6:7], v[104:105], v[38:39], -v[6:7]
	;; [unrolled: 2-line block ×4, first 2 shown]
	ds_read_b128 v[32:35], v242 offset:2816
	ds_read_b128 v[36:39], v242 offset:4224
	s_waitcnt lgkmcnt(3)
	v_add_f64 v[40:41], v[48:49], -v[0:1]
	v_add_f64 v[42:43], v[50:51], -v[2:3]
	s_waitcnt lgkmcnt(2)
	v_add_f64 v[44:45], v[52:53], -v[4:5]
	v_add_f64 v[46:47], v[54:55], -v[6:7]
	v_mad_u64_u32 v[0:1], null, s10, v247, 0
	s_waitcnt lgkmcnt(1)
	v_add_f64 v[56:57], v[32:33], -v[8:9]
	v_add_f64 v[58:59], v[34:35], -v[10:11]
	s_waitcnt lgkmcnt(0)
	v_add_f64 v[60:61], v[36:37], -v[12:13]
	v_add_f64 v[62:63], v[38:39], -v[14:15]
	v_mad_u64_u32 v[2:3], null, s8, v241, 0
	v_mad_u64_u32 v[4:5], null, s11, v247, v[1:2]
	v_fma_f64 v[48:49], v[48:49], 2.0, -v[40:41]
	v_fma_f64 v[50:51], v[50:51], 2.0, -v[42:43]
	v_fma_f64 v[52:53], v[52:53], 2.0, -v[44:45]
	v_fma_f64 v[54:55], v[54:55], 2.0, -v[46:47]
	v_mad_u64_u32 v[5:6], null, s9, v241, v[3:4]
	v_fma_f64 v[32:33], v[32:33], 2.0, -v[56:57]
	v_fma_f64 v[34:35], v[34:35], 2.0, -v[58:59]
	;; [unrolled: 1-line block ×4, first 2 shown]
	ds_write_b128 v242, v[40:43] offset:5632
	ds_write_b128 v242, v[44:47] offset:7040
	;; [unrolled: 1-line block ×4, first 2 shown]
	ds_write_b128 v242, v[48:51]
	ds_write_b128 v242, v[52:55] offset:1408
	ds_write_b128 v242, v[32:35] offset:2816
	ds_write_b128 v242, v[36:39] offset:4224
	s_waitcnt lgkmcnt(0)
	s_barrier
	buffer_gl0_inv
	ds_read_b128 v[32:35], v242 offset:5632
	ds_read_b128 v[36:39], v242
	ds_read_b128 v[40:43], v242 offset:1408
	ds_read_b128 v[44:47], v242 offset:7040
	;; [unrolled: 1-line block ×6, first 2 shown]
	s_clause 0xb
	buffer_load_dword v84, off, s[40:43], 0 offset:32
	buffer_load_dword v85, off, s[40:43], 0 offset:36
	;; [unrolled: 1-line block ×4, first 2 shown]
	buffer_load_dword v16, off, s[40:43], 0
	buffer_load_dword v17, off, s[40:43], 0 offset:4
	buffer_load_dword v18, off, s[40:43], 0 offset:8
	;; [unrolled: 1-line block ×7, first 2 shown]
	v_mov_b32_e32 v1, v4
	v_mov_b32_e32 v3, v5
	v_lshlrev_b64 v[0:1], 4, v[0:1]
	v_lshlrev_b64 v[2:3], 4, v[2:3]
	v_add_co_u32 v0, vcc_lo, s4, v0
	v_add_co_ci_u32_e32 v1, vcc_lo, s5, v1, vcc_lo
	s_add_i32 s4, s2, s3
	v_add_co_u32 v64, vcc_lo, v0, v2
	v_add_co_ci_u32_e32 v65, vcc_lo, v1, v3, vcc_lo
	s_waitcnt lgkmcnt(6)
	v_mul_f64 v[0:1], v[253:254], v[38:39]
	v_mul_f64 v[2:3], v[253:254], v[36:37]
	v_add_co_u32 v66, vcc_lo, v64, s0
	v_add_co_ci_u32_e32 v67, vcc_lo, s1, v65, vcc_lo
	s_mov_b32 s2, 0x745d1746
	v_add_co_u32 v76, vcc_lo, v66, s7
	v_add_co_ci_u32_e32 v77, vcc_lo, s4, v67, vcc_lo
	s_mov_b32 s3, 0x3f5745d1
	v_add_co_u32 v78, vcc_lo, v76, s0
	v_add_co_ci_u32_e32 v79, vcc_lo, s1, v77, vcc_lo
	v_fma_f64 v[0:1], v[251:252], v[36:37], v[0:1]
	v_fma_f64 v[2:3], v[251:252], v[38:39], -v[2:3]
	v_mul_f64 v[0:1], v[0:1], s[2:3]
	v_mul_f64 v[2:3], v[2:3], s[2:3]
	s_waitcnt vmcnt(8)
	v_mul_f64 v[4:5], v[86:87], v[34:35]
	v_mul_f64 v[6:7], v[86:87], v[32:33]
	s_clause 0xf
	buffer_load_dword v86, off, s[40:43], 0 offset:48
	buffer_load_dword v87, off, s[40:43], 0 offset:52
	;; [unrolled: 1-line block ×16, first 2 shown]
	s_waitcnt vmcnt(20) lgkmcnt(5)
	v_mul_f64 v[8:9], v[18:19], v[42:43]
	v_mul_f64 v[10:11], v[18:19], v[40:41]
	s_waitcnt vmcnt(16) lgkmcnt(4)
	v_mul_f64 v[12:13], v[82:83], v[46:47]
	v_mul_f64 v[14:15], v[82:83], v[44:45]
	v_fma_f64 v[4:5], v[84:85], v[32:33], v[4:5]
	v_fma_f64 v[6:7], v[84:85], v[34:35], -v[6:7]
	v_fma_f64 v[8:9], v[16:17], v[40:41], v[8:9]
	v_fma_f64 v[10:11], v[16:17], v[42:43], -v[10:11]
	;; [unrolled: 2-line block ×3, first 2 shown]
	v_add_co_u32 v40, vcc_lo, v78, s7
	v_add_co_ci_u32_e32 v41, vcc_lo, s4, v79, vcc_lo
	v_mul_f64 v[4:5], v[4:5], s[2:3]
	v_mul_f64 v[6:7], v[6:7], s[2:3]
	;; [unrolled: 1-line block ×6, first 2 shown]
	s_waitcnt vmcnt(12) lgkmcnt(2)
	v_mul_f64 v[68:69], v[88:89], v[54:55]
	v_mul_f64 v[18:19], v[88:89], v[52:53]
	s_waitcnt vmcnt(8)
	v_mul_f64 v[70:71], v[22:23], v[50:51]
	v_mul_f64 v[22:23], v[22:23], v[48:49]
	s_waitcnt vmcnt(4) lgkmcnt(1)
	v_mul_f64 v[72:73], v[26:27], v[58:59]
	v_mul_f64 v[26:27], v[26:27], v[56:57]
	s_waitcnt vmcnt(0) lgkmcnt(0)
	v_mul_f64 v[74:75], v[30:31], v[62:63]
	v_mul_f64 v[30:31], v[30:31], v[60:61]
	v_fma_f64 v[32:33], v[86:87], v[52:53], v[68:69]
	v_fma_f64 v[18:19], v[86:87], v[54:55], -v[18:19]
	v_fma_f64 v[34:35], v[20:21], v[48:49], v[70:71]
	v_fma_f64 v[22:23], v[20:21], v[50:51], -v[22:23]
	;; [unrolled: 2-line block ×4, first 2 shown]
	v_mul_f64 v[16:17], v[32:33], s[2:3]
	v_mul_f64 v[18:19], v[18:19], s[2:3]
	;; [unrolled: 1-line block ×8, first 2 shown]
	v_add_co_u32 v32, vcc_lo, v40, s0
	v_add_co_ci_u32_e32 v33, vcc_lo, s1, v41, vcc_lo
	v_add_co_u32 v34, vcc_lo, v32, s7
	v_add_co_ci_u32_e32 v35, vcc_lo, s4, v33, vcc_lo
	;; [unrolled: 2-line block ×3, first 2 shown]
	global_store_dwordx4 v[64:65], v[0:3], off
	global_store_dwordx4 v[66:67], v[4:7], off
	;; [unrolled: 1-line block ×8, first 2 shown]
.LBB0_10:
	s_endpgm
	.section	.rodata,"a",@progbits
	.p2align	6, 0x0
	.amdhsa_kernel bluestein_single_fwd_len704_dim1_dp_op_CI_CI
		.amdhsa_group_segment_fixed_size 22528
		.amdhsa_private_segment_fixed_size 140
		.amdhsa_kernarg_size 104
		.amdhsa_user_sgpr_count 6
		.amdhsa_user_sgpr_private_segment_buffer 1
		.amdhsa_user_sgpr_dispatch_ptr 0
		.amdhsa_user_sgpr_queue_ptr 0
		.amdhsa_user_sgpr_kernarg_segment_ptr 1
		.amdhsa_user_sgpr_dispatch_id 0
		.amdhsa_user_sgpr_flat_scratch_init 0
		.amdhsa_user_sgpr_private_segment_size 0
		.amdhsa_wavefront_size32 1
		.amdhsa_uses_dynamic_stack 0
		.amdhsa_system_sgpr_private_segment_wavefront_offset 1
		.amdhsa_system_sgpr_workgroup_id_x 1
		.amdhsa_system_sgpr_workgroup_id_y 0
		.amdhsa_system_sgpr_workgroup_id_z 0
		.amdhsa_system_sgpr_workgroup_info 0
		.amdhsa_system_vgpr_workitem_id 0
		.amdhsa_next_free_vgpr 256
		.amdhsa_next_free_sgpr 44
		.amdhsa_reserve_vcc 1
		.amdhsa_reserve_flat_scratch 0
		.amdhsa_float_round_mode_32 0
		.amdhsa_float_round_mode_16_64 0
		.amdhsa_float_denorm_mode_32 3
		.amdhsa_float_denorm_mode_16_64 3
		.amdhsa_dx10_clamp 1
		.amdhsa_ieee_mode 1
		.amdhsa_fp16_overflow 0
		.amdhsa_workgroup_processor_mode 1
		.amdhsa_memory_ordered 1
		.amdhsa_forward_progress 0
		.amdhsa_shared_vgpr_count 0
		.amdhsa_exception_fp_ieee_invalid_op 0
		.amdhsa_exception_fp_denorm_src 0
		.amdhsa_exception_fp_ieee_div_zero 0
		.amdhsa_exception_fp_ieee_overflow 0
		.amdhsa_exception_fp_ieee_underflow 0
		.amdhsa_exception_fp_ieee_inexact 0
		.amdhsa_exception_int_div_zero 0
	.end_amdhsa_kernel
	.text
.Lfunc_end0:
	.size	bluestein_single_fwd_len704_dim1_dp_op_CI_CI, .Lfunc_end0-bluestein_single_fwd_len704_dim1_dp_op_CI_CI
                                        ; -- End function
	.section	.AMDGPU.csdata,"",@progbits
; Kernel info:
; codeLenInByte = 15104
; NumSgprs: 46
; NumVgprs: 256
; ScratchSize: 140
; MemoryBound: 0
; FloatMode: 240
; IeeeMode: 1
; LDSByteSize: 22528 bytes/workgroup (compile time only)
; SGPRBlocks: 5
; VGPRBlocks: 31
; NumSGPRsForWavesPerEU: 46
; NumVGPRsForWavesPerEU: 256
; Occupancy: 4
; WaveLimiterHint : 1
; COMPUTE_PGM_RSRC2:SCRATCH_EN: 1
; COMPUTE_PGM_RSRC2:USER_SGPR: 6
; COMPUTE_PGM_RSRC2:TRAP_HANDLER: 0
; COMPUTE_PGM_RSRC2:TGID_X_EN: 1
; COMPUTE_PGM_RSRC2:TGID_Y_EN: 0
; COMPUTE_PGM_RSRC2:TGID_Z_EN: 0
; COMPUTE_PGM_RSRC2:TIDIG_COMP_CNT: 0
	.text
	.p2alignl 6, 3214868480
	.fill 48, 4, 3214868480
	.type	__hip_cuid_3eaa8b38999317d3,@object ; @__hip_cuid_3eaa8b38999317d3
	.section	.bss,"aw",@nobits
	.globl	__hip_cuid_3eaa8b38999317d3
__hip_cuid_3eaa8b38999317d3:
	.byte	0                               ; 0x0
	.size	__hip_cuid_3eaa8b38999317d3, 1

	.ident	"AMD clang version 19.0.0git (https://github.com/RadeonOpenCompute/llvm-project roc-6.4.0 25133 c7fe45cf4b819c5991fe208aaa96edf142730f1d)"
	.section	".note.GNU-stack","",@progbits
	.addrsig
	.addrsig_sym __hip_cuid_3eaa8b38999317d3
	.amdgpu_metadata
---
amdhsa.kernels:
  - .args:
      - .actual_access:  read_only
        .address_space:  global
        .offset:         0
        .size:           8
        .value_kind:     global_buffer
      - .actual_access:  read_only
        .address_space:  global
        .offset:         8
        .size:           8
        .value_kind:     global_buffer
      - .actual_access:  read_only
        .address_space:  global
        .offset:         16
        .size:           8
        .value_kind:     global_buffer
      - .actual_access:  read_only
        .address_space:  global
        .offset:         24
        .size:           8
        .value_kind:     global_buffer
      - .actual_access:  read_only
        .address_space:  global
        .offset:         32
        .size:           8
        .value_kind:     global_buffer
      - .offset:         40
        .size:           8
        .value_kind:     by_value
      - .address_space:  global
        .offset:         48
        .size:           8
        .value_kind:     global_buffer
      - .address_space:  global
        .offset:         56
        .size:           8
        .value_kind:     global_buffer
      - .address_space:  global
        .offset:         64
        .size:           8
        .value_kind:     global_buffer
      - .address_space:  global
        .offset:         72
        .size:           8
        .value_kind:     global_buffer
      - .offset:         80
        .size:           4
        .value_kind:     by_value
      - .address_space:  global
        .offset:         88
        .size:           8
        .value_kind:     global_buffer
      - .address_space:  global
        .offset:         96
        .size:           8
        .value_kind:     global_buffer
    .group_segment_fixed_size: 22528
    .kernarg_segment_align: 8
    .kernarg_segment_size: 104
    .language:       OpenCL C
    .language_version:
      - 2
      - 0
    .max_flat_workgroup_size: 176
    .name:           bluestein_single_fwd_len704_dim1_dp_op_CI_CI
    .private_segment_fixed_size: 140
    .sgpr_count:     46
    .sgpr_spill_count: 0
    .symbol:         bluestein_single_fwd_len704_dim1_dp_op_CI_CI.kd
    .uniform_work_group_size: 1
    .uses_dynamic_stack: false
    .vgpr_count:     256
    .vgpr_spill_count: 34
    .wavefront_size: 32
    .workgroup_processor_mode: 1
amdhsa.target:   amdgcn-amd-amdhsa--gfx1030
amdhsa.version:
  - 1
  - 2
...

	.end_amdgpu_metadata
